;; amdgpu-corpus repo=zjin-lcf/HeCBench kind=compiled arch=gfx1030 opt=O3
	.amdgcn_target "amdgcn-amd-amdhsa--gfx1030"
	.amdhsa_code_object_version 6
	.text
	.protected	_Z11pnpoly_basePiPK15HIP_vector_typeIfLj2EES3_i ; -- Begin function _Z11pnpoly_basePiPK15HIP_vector_typeIfLj2EES3_i
	.globl	_Z11pnpoly_basePiPK15HIP_vector_typeIfLj2EES3_i
	.p2align	8
	.type	_Z11pnpoly_basePiPK15HIP_vector_typeIfLj2EES3_i,@function
_Z11pnpoly_basePiPK15HIP_vector_typeIfLj2EES3_i: ; @_Z11pnpoly_basePiPK15HIP_vector_typeIfLj2EES3_i
; %bb.0:
	s_clause 0x1
	s_load_dword s0, s[4:5], 0x2c
	s_load_dword s1, s[4:5], 0x18
	s_waitcnt lgkmcnt(0)
	s_and_b32 s0, s0, 0xffff
	v_mad_u64_u32 v[0:1], null, s6, s0, v[0:1]
	s_mov_b32 s0, exec_lo
	v_cmpx_gt_i32_e64 s1, v0
	s_cbranch_execz .LBB0_16
; %bb.1:
	s_clause 0x1
	s_load_dwordx4 s[8:11], s[4:5], 0x0
	s_load_dwordx2 s[2:3], s[4:5], 0x10
	v_ashrrev_i32_e32 v1, 31, v0
	v_mov_b32_e32 v4, 0
	s_mov_b32 s5, 0
	s_movk_i32 s4, 0x257
	s_mov_b64 s[6:7], 0
	v_lshlrev_b64 v[2:3], 3, v[0:1]
	s_mov_b32 s1, s5
	s_waitcnt lgkmcnt(0)
	v_add_co_u32 v2, vcc_lo, s10, v2
	v_add_co_ci_u32_e64 v3, null, s11, v3, vcc_lo
	s_load_dword s12, s[2:3], 0x12bc
	global_load_dwordx2 v[2:3], v[2:3], off
	s_branch .LBB0_4
.LBB0_2:                                ;   in Loop: Header=BB0_4 Depth=1
	s_or_b32 exec_lo, exec_lo, s4
.LBB0_3:                                ;   in Loop: Header=BB0_4 Depth=1
	s_or_b32 exec_lo, exec_lo, s0
	s_add_i32 s4, s1, 2
	s_add_i32 s1, s1, 3
	s_add_u32 s6, s6, 24
	s_addc_u32 s7, s7, 0
	s_cmpk_eq_i32 s6, 0x12c0
	s_cbranch_scc1 .LBB0_15
.LBB0_4:                                ; =>This Inner Loop Header: Depth=1
	s_add_u32 s10, s2, s6
	s_addc_u32 s11, s3, s7
	s_waitcnt vmcnt(0) lgkmcnt(0)
	v_cmp_ngt_f32_e64 s0, s12, v3
	s_load_dword s13, s[10:11], 0x4
	s_waitcnt lgkmcnt(0)
	v_cmp_gt_f32_e32 vcc_lo, s13, v3
	s_xor_b32 s0, vcc_lo, s0
	s_xor_b32 s14, s0, -1
	s_and_saveexec_b32 s0, s14
	s_cbranch_execz .LBB0_8
; %bb.5:                                ;   in Loop: Header=BB0_4 Depth=1
	s_lshl_b64 s[14:15], s[4:5], 3
	v_sub_f32_e64 v5, s12, s13
	s_add_u32 s14, s2, s14
	s_addc_u32 s15, s3, s15
	s_clause 0x1
	s_load_dword s4, s[14:15], 0x0
	s_load_dword s14, s[10:11], 0x0
	s_waitcnt lgkmcnt(0)
	v_sub_f32_e64 v6, s4, s14
	s_mov_b32 s4, exec_lo
	v_div_scale_f32 v7, null, v5, v5, v6
	v_div_scale_f32 v10, vcc_lo, v6, v5, v6
	v_rcp_f32_e32 v8, v7
	v_fma_f32 v9, -v7, v8, 1.0
	v_fmac_f32_e32 v8, v9, v8
	v_mul_f32_e32 v9, v10, v8
	v_fma_f32 v11, -v7, v9, v10
	v_fmac_f32_e32 v9, v11, v8
	v_fma_f32 v7, -v7, v9, v10
	v_div_fmas_f32 v7, v7, v8, v9
	v_div_fixup_f32 v5, v7, v5, v6
	v_subrev_f32_e32 v6, s13, v3
	v_fma_f32 v5, v6, v5, s14
	v_cmpx_lt_f32_e32 v2, v5
; %bb.6:                                ;   in Loop: Header=BB0_4 Depth=1
	v_cmp_eq_u32_e32 vcc_lo, 0, v4
	v_cndmask_b32_e64 v4, 0, 1, vcc_lo
; %bb.7:                                ;   in Loop: Header=BB0_4 Depth=1
	s_or_b32 exec_lo, exec_lo, s4
.LBB0_8:                                ;   in Loop: Header=BB0_4 Depth=1
	s_or_b32 exec_lo, exec_lo, s0
	s_load_dword s4, s[10:11], 0xc
	v_cmp_ngt_f32_e64 s0, s13, v3
	s_waitcnt lgkmcnt(0)
	v_cmp_gt_f32_e32 vcc_lo, s4, v3
	s_xor_b32 s0, vcc_lo, s0
	s_xor_b32 s12, s0, -1
	s_and_saveexec_b32 s0, s12
	s_cbranch_execz .LBB0_12
; %bb.9:                                ;   in Loop: Header=BB0_4 Depth=1
	s_clause 0x1
	s_load_dword s12, s[10:11], 0x0
	s_load_dword s14, s[10:11], 0x8
	v_sub_f32_e64 v5, s13, s4
	s_waitcnt lgkmcnt(0)
	v_sub_f32_e64 v6, s12, s14
	s_mov_b32 s12, exec_lo
	v_div_scale_f32 v7, null, v5, v5, v6
	v_div_scale_f32 v10, vcc_lo, v6, v5, v6
	v_rcp_f32_e32 v8, v7
	v_fma_f32 v9, -v7, v8, 1.0
	v_fmac_f32_e32 v8, v9, v8
	v_mul_f32_e32 v9, v10, v8
	v_fma_f32 v11, -v7, v9, v10
	v_fmac_f32_e32 v9, v11, v8
	v_fma_f32 v7, -v7, v9, v10
	v_div_fmas_f32 v7, v7, v8, v9
	v_div_fixup_f32 v5, v7, v5, v6
	v_subrev_f32_e32 v6, s4, v3
	v_fma_f32 v5, v6, v5, s14
	v_cmpx_lt_f32_e32 v2, v5
; %bb.10:                               ;   in Loop: Header=BB0_4 Depth=1
	v_cmp_eq_u32_e32 vcc_lo, 0, v4
	v_cndmask_b32_e64 v4, 0, 1, vcc_lo
; %bb.11:                               ;   in Loop: Header=BB0_4 Depth=1
	s_or_b32 exec_lo, exec_lo, s12
.LBB0_12:                               ;   in Loop: Header=BB0_4 Depth=1
	s_or_b32 exec_lo, exec_lo, s0
	s_load_dword s12, s[10:11], 0x14
	v_cmp_ngt_f32_e64 s0, s4, v3
	s_waitcnt lgkmcnt(0)
	v_cmp_gt_f32_e32 vcc_lo, s12, v3
	s_xor_b32 s0, vcc_lo, s0
	s_xor_b32 s13, s0, -1
	s_and_saveexec_b32 s0, s13
	s_cbranch_execz .LBB0_3
; %bb.13:                               ;   in Loop: Header=BB0_4 Depth=1
	s_clause 0x1
	s_load_dword s13, s[10:11], 0x8
	s_load_dword s10, s[10:11], 0x10
	v_sub_f32_e64 v5, s4, s12
	s_mov_b32 s4, exec_lo
	s_waitcnt lgkmcnt(0)
	v_sub_f32_e64 v6, s13, s10
	v_div_scale_f32 v7, null, v5, v5, v6
	v_div_scale_f32 v10, vcc_lo, v6, v5, v6
	v_rcp_f32_e32 v8, v7
	v_fma_f32 v9, -v7, v8, 1.0
	v_fmac_f32_e32 v8, v9, v8
	v_mul_f32_e32 v9, v10, v8
	v_fma_f32 v11, -v7, v9, v10
	v_fmac_f32_e32 v9, v11, v8
	v_fma_f32 v7, -v7, v9, v10
	v_div_fmas_f32 v7, v7, v8, v9
	v_div_fixup_f32 v5, v7, v5, v6
	v_subrev_f32_e32 v6, s12, v3
	v_fma_f32 v5, v6, v5, s10
	v_cmpx_lt_f32_e32 v2, v5
	s_cbranch_execz .LBB0_2
; %bb.14:                               ;   in Loop: Header=BB0_4 Depth=1
	v_cmp_eq_u32_e32 vcc_lo, 0, v4
	v_cndmask_b32_e64 v4, 0, 1, vcc_lo
	s_branch .LBB0_2
.LBB0_15:
	v_lshlrev_b64 v[0:1], 2, v[0:1]
	v_add_co_u32 v0, vcc_lo, s8, v0
	v_add_co_ci_u32_e64 v1, null, s9, v1, vcc_lo
	global_store_dword v[0:1], v4, off
.LBB0_16:
	s_endpgm
	.section	.rodata,"a",@progbits
	.p2align	6, 0x0
	.amdhsa_kernel _Z11pnpoly_basePiPK15HIP_vector_typeIfLj2EES3_i
		.amdhsa_group_segment_fixed_size 0
		.amdhsa_private_segment_fixed_size 0
		.amdhsa_kernarg_size 288
		.amdhsa_user_sgpr_count 6
		.amdhsa_user_sgpr_private_segment_buffer 1
		.amdhsa_user_sgpr_dispatch_ptr 0
		.amdhsa_user_sgpr_queue_ptr 0
		.amdhsa_user_sgpr_kernarg_segment_ptr 1
		.amdhsa_user_sgpr_dispatch_id 0
		.amdhsa_user_sgpr_flat_scratch_init 0
		.amdhsa_user_sgpr_private_segment_size 0
		.amdhsa_wavefront_size32 1
		.amdhsa_uses_dynamic_stack 0
		.amdhsa_system_sgpr_private_segment_wavefront_offset 0
		.amdhsa_system_sgpr_workgroup_id_x 1
		.amdhsa_system_sgpr_workgroup_id_y 0
		.amdhsa_system_sgpr_workgroup_id_z 0
		.amdhsa_system_sgpr_workgroup_info 0
		.amdhsa_system_vgpr_workitem_id 0
		.amdhsa_next_free_vgpr 12
		.amdhsa_next_free_sgpr 16
		.amdhsa_reserve_vcc 1
		.amdhsa_reserve_flat_scratch 0
		.amdhsa_float_round_mode_32 0
		.amdhsa_float_round_mode_16_64 0
		.amdhsa_float_denorm_mode_32 3
		.amdhsa_float_denorm_mode_16_64 3
		.amdhsa_dx10_clamp 1
		.amdhsa_ieee_mode 1
		.amdhsa_fp16_overflow 0
		.amdhsa_workgroup_processor_mode 1
		.amdhsa_memory_ordered 1
		.amdhsa_forward_progress 1
		.amdhsa_shared_vgpr_count 0
		.amdhsa_exception_fp_ieee_invalid_op 0
		.amdhsa_exception_fp_denorm_src 0
		.amdhsa_exception_fp_ieee_div_zero 0
		.amdhsa_exception_fp_ieee_overflow 0
		.amdhsa_exception_fp_ieee_underflow 0
		.amdhsa_exception_fp_ieee_inexact 0
		.amdhsa_exception_int_div_zero 0
	.end_amdhsa_kernel
	.text
.Lfunc_end0:
	.size	_Z11pnpoly_basePiPK15HIP_vector_typeIfLj2EES3_i, .Lfunc_end0-_Z11pnpoly_basePiPK15HIP_vector_typeIfLj2EES3_i
                                        ; -- End function
	.set _Z11pnpoly_basePiPK15HIP_vector_typeIfLj2EES3_i.num_vgpr, 12
	.set _Z11pnpoly_basePiPK15HIP_vector_typeIfLj2EES3_i.num_agpr, 0
	.set _Z11pnpoly_basePiPK15HIP_vector_typeIfLj2EES3_i.numbered_sgpr, 16
	.set _Z11pnpoly_basePiPK15HIP_vector_typeIfLj2EES3_i.num_named_barrier, 0
	.set _Z11pnpoly_basePiPK15HIP_vector_typeIfLj2EES3_i.private_seg_size, 0
	.set _Z11pnpoly_basePiPK15HIP_vector_typeIfLj2EES3_i.uses_vcc, 1
	.set _Z11pnpoly_basePiPK15HIP_vector_typeIfLj2EES3_i.uses_flat_scratch, 0
	.set _Z11pnpoly_basePiPK15HIP_vector_typeIfLj2EES3_i.has_dyn_sized_stack, 0
	.set _Z11pnpoly_basePiPK15HIP_vector_typeIfLj2EES3_i.has_recursion, 0
	.set _Z11pnpoly_basePiPK15HIP_vector_typeIfLj2EES3_i.has_indirect_call, 0
	.section	.AMDGPU.csdata,"",@progbits
; Kernel info:
; codeLenInByte = 816
; TotalNumSgprs: 18
; NumVgprs: 12
; ScratchSize: 0
; MemoryBound: 0
; FloatMode: 240
; IeeeMode: 1
; LDSByteSize: 0 bytes/workgroup (compile time only)
; SGPRBlocks: 0
; VGPRBlocks: 1
; NumSGPRsForWavesPerEU: 18
; NumVGPRsForWavesPerEU: 12
; Occupancy: 16
; WaveLimiterHint : 0
; COMPUTE_PGM_RSRC2:SCRATCH_EN: 0
; COMPUTE_PGM_RSRC2:USER_SGPR: 6
; COMPUTE_PGM_RSRC2:TRAP_HANDLER: 0
; COMPUTE_PGM_RSRC2:TGID_X_EN: 1
; COMPUTE_PGM_RSRC2:TGID_Y_EN: 0
; COMPUTE_PGM_RSRC2:TGID_Z_EN: 0
; COMPUTE_PGM_RSRC2:TIDIG_COMP_CNT: 0
	.section	.text._Z10pnpoly_optILi1EEvPiPK15HIP_vector_typeIfLj2EES4_i,"axG",@progbits,_Z10pnpoly_optILi1EEvPiPK15HIP_vector_typeIfLj2EES4_i,comdat
	.protected	_Z10pnpoly_optILi1EEvPiPK15HIP_vector_typeIfLj2EES4_i ; -- Begin function _Z10pnpoly_optILi1EEvPiPK15HIP_vector_typeIfLj2EES4_i
	.globl	_Z10pnpoly_optILi1EEvPiPK15HIP_vector_typeIfLj2EES4_i
	.p2align	8
	.type	_Z10pnpoly_optILi1EEvPiPK15HIP_vector_typeIfLj2EES4_i,@function
_Z10pnpoly_optILi1EEvPiPK15HIP_vector_typeIfLj2EES4_i: ; @_Z10pnpoly_optILi1EEvPiPK15HIP_vector_typeIfLj2EES4_i
; %bb.0:
	s_load_dword s0, s[4:5], 0x18
	v_lshl_add_u32 v0, s6, 8, v0
	s_waitcnt lgkmcnt(0)
	v_cmp_gt_i32_e32 vcc_lo, s0, v0
	s_and_saveexec_b32 s0, vcc_lo
	s_cbranch_execz .LBB1_4
; %bb.1:
	s_clause 0x1
	s_load_dwordx4 s[16:19], s[4:5], 0x0
	s_load_dwordx2 s[20:21], s[4:5], 0x10
	v_ashrrev_i32_e32 v1, 31, v0
	v_mov_b32_e32 v4, 0
	v_lshlrev_b64 v[2:3], 3, v[0:1]
	s_waitcnt lgkmcnt(0)
	v_add_co_u32 v2, vcc_lo, s18, v2
	v_add_co_ci_u32_e64 v3, null, s19, v3, vcc_lo
	s_load_dwordx2 s[0:1], s[20:21], 0x12b8
	s_mov_b64 s[18:19], 0
	global_load_dwordx2 v[2:3], v[2:3], off
.LBB1_2:                                ; =>This Inner Loop Header: Depth=1
	s_add_u32 s2, s20, s18
	s_addc_u32 s3, s21, s19
	s_waitcnt vmcnt(0) lgkmcnt(0)
	v_cmp_gt_f32_e32 vcc_lo, s1, v3
	s_clause 0x1
	s_load_dwordx8 s[8:15], s[2:3], 0x0
	s_load_dwordx2 s[22:23], s[2:3], 0x20
	s_waitcnt lgkmcnt(0)
	v_sub_f32_e64 v5, s0, s8
	v_sub_f32_e64 v6, s1, s9
	;; [unrolled: 1-line block ×6, first 2 shown]
	v_div_scale_f32 v20, null, v6, v6, v5
	v_sub_f32_e64 v14, s12, s14
	v_sub_f32_e64 v15, s13, s15
	v_div_scale_f32 v22, null, v9, v9, v8
	v_sub_f32_e64 v17, s14, s22
	v_sub_f32_e64 v18, s15, s23
	v_div_scale_f32 v24, null, v12, v12, v11
	v_rcp_f32_e32 v30, v20
	v_div_scale_f32 v26, null, v15, v15, v14
	v_rcp_f32_e32 v31, v22
	;; [unrolled: 2-line block ×3, first 2 shown]
	v_rcp_f32_e32 v33, v26
	v_cmp_gt_f32_e64 s0, s9, v3
	v_rcp_f32_e32 v34, v28
	v_fma_f32 v35, -v20, v30, 1.0
	v_cmp_gt_f32_e64 s1, s11, v3
	v_div_scale_f32 v21, s5, v5, v6, v5
	v_fma_f32 v36, -v22, v31, 1.0
	v_fmac_f32_e32 v30, v35, v30
	v_fma_f32 v37, -v24, v32, 1.0
	v_cmp_gt_f32_e64 s2, s13, v3
	v_div_scale_f32 v23, s6, v8, v9, v8
	v_fma_f32 v38, -v26, v33, 1.0
	v_fmac_f32_e32 v31, v36, v31
	v_subrev_f32_e32 v7, s9, v3
	v_cmp_gt_f32_e64 s3, s15, v3
	s_xor_b32 s7, s0, vcc_lo
	s_xor_b32 s9, s1, s0
	v_div_scale_f32 v25, s0, v11, v12, v11
	v_fma_f32 v39, -v28, v34, 1.0
	v_fmac_f32_e32 v32, v37, v32
	v_mul_f32_e32 v35, v21, v30
	v_subrev_f32_e32 v10, s11, v3
	s_xor_b32 s11, s2, s1
	v_div_scale_f32 v27, s1, v14, v15, v14
	v_fmac_f32_e32 v33, v38, v33
	v_mul_f32_e32 v36, v23, v31
	v_subrev_f32_e32 v13, s13, v3
	s_xor_b32 s13, s3, s2
	v_div_scale_f32 v29, s2, v17, v18, v17
	v_fmac_f32_e32 v34, v39, v34
	v_mul_f32_e32 v37, v25, v32
	v_fma_f32 v40, -v20, v35, v21
	v_mul_f32_e32 v38, v27, v33
	v_fma_f32 v41, -v22, v36, v23
	;; [unrolled: 2-line block ×3, first 2 shown]
	v_fmac_f32_e32 v35, v40, v30
	v_fma_f32 v43, -v26, v38, v27
	v_fmac_f32_e32 v36, v41, v31
	v_fma_f32 v44, -v28, v39, v29
	;; [unrolled: 2-line block ×4, first 2 shown]
	s_mov_b32 vcc_lo, s5
	v_fmac_f32_e32 v39, v44, v34
	v_fma_f32 v22, -v24, v37, v25
	v_div_fmas_f32 v20, v20, v30, v35
	s_mov_b32 vcc_lo, s6
	v_fma_f32 v23, -v26, v38, v27
	v_div_fmas_f32 v21, v21, v31, v36
	s_mov_b32 vcc_lo, s0
	v_fma_f32 v24, -v28, v39, v29
	v_div_fmas_f32 v22, v22, v32, v37
	v_div_fixup_f32 v5, v20, v6, v5
	s_mov_b32 vcc_lo, s1
	v_div_fixup_f32 v8, v21, v9, v8
	v_div_fmas_f32 v6, v23, v33, v38
	s_mov_b32 vcc_lo, s2
	v_div_fixup_f32 v11, v22, v12, v11
	v_div_fmas_f32 v9, v24, v34, v39
	v_fma_f32 v5, v7, v5, s8
	v_fma_f32 v7, v10, v8, s10
	v_subrev_f32_e32 v16, s15, v3
	v_subrev_f32_e32 v19, s23, v3
	v_div_fixup_f32 v6, v6, v15, v14
	v_div_fixup_f32 v8, v9, v18, v17
	v_fma_f32 v9, v13, v11, s12
	v_cmp_lt_f32_e32 vcc_lo, v2, v5
	v_cmp_lt_f32_e64 s0, v2, v7
	v_fma_f32 v5, v16, v6, s14
	v_fma_f32 v6, v19, v8, s22
	v_cmp_lt_f32_e64 s1, v2, v9
	s_and_b32 s2, s7, vcc_lo
	v_cmp_gt_f32_e64 s4, s23, v3
	v_cndmask_b32_e64 v7, 0, 1, s2
	s_and_b32 s0, s9, s0
	v_cmp_lt_f32_e32 vcc_lo, v2, v5
	v_cndmask_b32_e64 v5, 0, 1, s0
	v_cmp_lt_f32_e64 s0, v2, v6
	s_and_b32 s1, s11, s1
	v_xor_b32_e32 v4, v4, v7
	v_cndmask_b32_e64 v6, 0, 1, s1
	s_xor_b32 s3, s4, s3
	s_and_b32 s1, s13, vcc_lo
	s_and_b32 s0, s3, s0
	v_cndmask_b32_e64 v7, 0, 1, s1
	v_cndmask_b32_e64 v8, 0, 1, s0
	v_xor3_b32 v4, v4, v5, v6
	s_add_u32 s18, s18, 40
	s_addc_u32 s19, s19, 0
	s_mov_b32 s1, s23
	s_cmpk_eq_i32 s18, 0x12c0
	v_xor3_b32 v4, v4, v7, v8
	s_mov_b32 s0, s22
	s_cbranch_scc0 .LBB1_2
; %bb.3:
	v_lshlrev_b64 v[0:1], 2, v[0:1]
	v_add_co_u32 v0, vcc_lo, s16, v0
	v_add_co_ci_u32_e64 v1, null, s17, v1, vcc_lo
	global_store_dword v[0:1], v4, off
.LBB1_4:
	s_endpgm
	.section	.rodata,"a",@progbits
	.p2align	6, 0x0
	.amdhsa_kernel _Z10pnpoly_optILi1EEvPiPK15HIP_vector_typeIfLj2EES4_i
		.amdhsa_group_segment_fixed_size 0
		.amdhsa_private_segment_fixed_size 0
		.amdhsa_kernarg_size 28
		.amdhsa_user_sgpr_count 6
		.amdhsa_user_sgpr_private_segment_buffer 1
		.amdhsa_user_sgpr_dispatch_ptr 0
		.amdhsa_user_sgpr_queue_ptr 0
		.amdhsa_user_sgpr_kernarg_segment_ptr 1
		.amdhsa_user_sgpr_dispatch_id 0
		.amdhsa_user_sgpr_flat_scratch_init 0
		.amdhsa_user_sgpr_private_segment_size 0
		.amdhsa_wavefront_size32 1
		.amdhsa_uses_dynamic_stack 0
		.amdhsa_system_sgpr_private_segment_wavefront_offset 0
		.amdhsa_system_sgpr_workgroup_id_x 1
		.amdhsa_system_sgpr_workgroup_id_y 0
		.amdhsa_system_sgpr_workgroup_id_z 0
		.amdhsa_system_sgpr_workgroup_info 0
		.amdhsa_system_vgpr_workitem_id 0
		.amdhsa_next_free_vgpr 45
		.amdhsa_next_free_sgpr 24
		.amdhsa_reserve_vcc 1
		.amdhsa_reserve_flat_scratch 0
		.amdhsa_float_round_mode_32 0
		.amdhsa_float_round_mode_16_64 0
		.amdhsa_float_denorm_mode_32 3
		.amdhsa_float_denorm_mode_16_64 3
		.amdhsa_dx10_clamp 1
		.amdhsa_ieee_mode 1
		.amdhsa_fp16_overflow 0
		.amdhsa_workgroup_processor_mode 1
		.amdhsa_memory_ordered 1
		.amdhsa_forward_progress 1
		.amdhsa_shared_vgpr_count 0
		.amdhsa_exception_fp_ieee_invalid_op 0
		.amdhsa_exception_fp_denorm_src 0
		.amdhsa_exception_fp_ieee_div_zero 0
		.amdhsa_exception_fp_ieee_overflow 0
		.amdhsa_exception_fp_ieee_underflow 0
		.amdhsa_exception_fp_ieee_inexact 0
		.amdhsa_exception_int_div_zero 0
	.end_amdhsa_kernel
	.section	.text._Z10pnpoly_optILi1EEvPiPK15HIP_vector_typeIfLj2EES4_i,"axG",@progbits,_Z10pnpoly_optILi1EEvPiPK15HIP_vector_typeIfLj2EES4_i,comdat
.Lfunc_end1:
	.size	_Z10pnpoly_optILi1EEvPiPK15HIP_vector_typeIfLj2EES4_i, .Lfunc_end1-_Z10pnpoly_optILi1EEvPiPK15HIP_vector_typeIfLj2EES4_i
                                        ; -- End function
	.set _Z10pnpoly_optILi1EEvPiPK15HIP_vector_typeIfLj2EES4_i.num_vgpr, 45
	.set _Z10pnpoly_optILi1EEvPiPK15HIP_vector_typeIfLj2EES4_i.num_agpr, 0
	.set _Z10pnpoly_optILi1EEvPiPK15HIP_vector_typeIfLj2EES4_i.numbered_sgpr, 24
	.set _Z10pnpoly_optILi1EEvPiPK15HIP_vector_typeIfLj2EES4_i.num_named_barrier, 0
	.set _Z10pnpoly_optILi1EEvPiPK15HIP_vector_typeIfLj2EES4_i.private_seg_size, 0
	.set _Z10pnpoly_optILi1EEvPiPK15HIP_vector_typeIfLj2EES4_i.uses_vcc, 1
	.set _Z10pnpoly_optILi1EEvPiPK15HIP_vector_typeIfLj2EES4_i.uses_flat_scratch, 0
	.set _Z10pnpoly_optILi1EEvPiPK15HIP_vector_typeIfLj2EES4_i.has_dyn_sized_stack, 0
	.set _Z10pnpoly_optILi1EEvPiPK15HIP_vector_typeIfLj2EES4_i.has_recursion, 0
	.set _Z10pnpoly_optILi1EEvPiPK15HIP_vector_typeIfLj2EES4_i.has_indirect_call, 0
	.section	.AMDGPU.csdata,"",@progbits
; Kernel info:
; codeLenInByte = 900
; TotalNumSgprs: 26
; NumVgprs: 45
; ScratchSize: 0
; MemoryBound: 0
; FloatMode: 240
; IeeeMode: 1
; LDSByteSize: 0 bytes/workgroup (compile time only)
; SGPRBlocks: 0
; VGPRBlocks: 5
; NumSGPRsForWavesPerEU: 26
; NumVGPRsForWavesPerEU: 45
; Occupancy: 16
; WaveLimiterHint : 0
; COMPUTE_PGM_RSRC2:SCRATCH_EN: 0
; COMPUTE_PGM_RSRC2:USER_SGPR: 6
; COMPUTE_PGM_RSRC2:TRAP_HANDLER: 0
; COMPUTE_PGM_RSRC2:TGID_X_EN: 1
; COMPUTE_PGM_RSRC2:TGID_Y_EN: 0
; COMPUTE_PGM_RSRC2:TGID_Z_EN: 0
; COMPUTE_PGM_RSRC2:TIDIG_COMP_CNT: 0
	.section	.text._Z10pnpoly_optILi2EEvPiPK15HIP_vector_typeIfLj2EES4_i,"axG",@progbits,_Z10pnpoly_optILi2EEvPiPK15HIP_vector_typeIfLj2EES4_i,comdat
	.protected	_Z10pnpoly_optILi2EEvPiPK15HIP_vector_typeIfLj2EES4_i ; -- Begin function _Z10pnpoly_optILi2EEvPiPK15HIP_vector_typeIfLj2EES4_i
	.globl	_Z10pnpoly_optILi2EEvPiPK15HIP_vector_typeIfLj2EES4_i
	.p2align	8
	.type	_Z10pnpoly_optILi2EEvPiPK15HIP_vector_typeIfLj2EES4_i,@function
_Z10pnpoly_optILi2EEvPiPK15HIP_vector_typeIfLj2EES4_i: ; @_Z10pnpoly_optILi2EEvPiPK15HIP_vector_typeIfLj2EES4_i
; %bb.0:
	s_load_dword s0, s[4:5], 0x18
	v_lshl_add_u32 v0, s6, 9, v0
	s_mov_b32 s1, exec_lo
	s_waitcnt lgkmcnt(0)
	v_cmpx_gt_i32_e64 s0, v0
	s_cbranch_execz .LBB2_23
; %bb.1:
	s_clause 0x1
	s_load_dwordx4 s[8:11], s[4:5], 0x0
	s_load_dwordx2 s[2:3], s[4:5], 0x10
	v_ashrrev_i32_e32 v1, 31, v0
	v_add_nc_u32_e32 v4, 0x100, v0
	v_lshlrev_b64 v[2:3], 3, v[0:1]
	v_cmp_gt_i32_e64 s0, s0, v4
                                        ; implicit-def: $vgpr5
	s_waitcnt lgkmcnt(0)
	v_add_co_u32 v6, vcc_lo, s10, v2
	v_add_co_ci_u32_e64 v7, null, s11, v3, vcc_lo
	global_load_dwordx2 v[2:3], v[6:7], off
	s_and_saveexec_b32 s1, s0
	s_cbranch_execz .LBB2_3
; %bb.2:
	v_add_co_u32 v4, vcc_lo, 0x800, v6
	v_add_co_ci_u32_e64 v5, null, 0, v7, vcc_lo
	global_load_dwordx2 v[4:5], v[4:5], off
.LBB2_3:
	s_or_b32 exec_lo, exec_lo, s1
	s_load_dwordx2 s[6:7], s[2:3], 0x12b8
	v_mov_b32_e32 v7, 0
	s_mov_b64 s[4:5], 0
	v_mov_b32_e32 v6, v7
	s_branch .LBB2_6
.LBB2_4:                                ;   in Loop: Header=BB2_6 Depth=1
	s_or_b32 exec_lo, exec_lo, s10
.LBB2_5:                                ;   in Loop: Header=BB2_6 Depth=1
	s_or_b32 exec_lo, exec_lo, s1
	s_add_u32 s4, s4, 16
	s_addc_u32 s5, s5, 0
	s_cmpk_lg_i32 s4, 0x12c0
	s_cbranch_scc0 .LBB2_21
.LBB2_6:                                ; =>This Inner Loop Header: Depth=1
	s_add_u32 s12, s2, s4
	s_addc_u32 s13, s3, s5
	s_waitcnt vmcnt(0) lgkmcnt(0)
	v_cmp_ngt_f32_e64 s1, s7, v3
	s_load_dwordx2 s[10:11], s[12:13], 0x0
	s_waitcnt lgkmcnt(0)
	v_sub_f32_e64 v8, s6, s10
	v_sub_f32_e64 v9, s7, s11
	v_div_scale_f32 v10, null, v9, v9, v8
	v_div_scale_f32 v13, vcc_lo, v8, v9, v8
	v_rcp_f32_e32 v11, v10
	v_fma_f32 v12, -v10, v11, 1.0
	v_fmac_f32_e32 v11, v12, v11
	v_mul_f32_e32 v12, v13, v11
	v_fma_f32 v14, -v10, v12, v13
	v_fmac_f32_e32 v12, v14, v11
	v_fma_f32 v10, -v10, v12, v13
	v_div_fmas_f32 v10, v10, v11, v12
	v_cmp_gt_f32_e32 vcc_lo, s11, v3
	v_div_fixup_f32 v8, v10, v9, v8
	s_xor_b32 s1, vcc_lo, s1
	s_xor_b32 s6, s1, -1
	s_and_saveexec_b32 s1, s6
	s_cbranch_execz .LBB2_10
; %bb.7:                                ;   in Loop: Header=BB2_6 Depth=1
	v_subrev_f32_e32 v9, s11, v3
	s_mov_b32 s6, exec_lo
	v_fma_f32 v9, v8, v9, s10
	v_cmpx_lt_f32_e32 v2, v9
; %bb.8:                                ;   in Loop: Header=BB2_6 Depth=1
	v_cmp_eq_u32_e32 vcc_lo, 0, v7
	v_cndmask_b32_e64 v7, 0, 1, vcc_lo
; %bb.9:                                ;   in Loop: Header=BB2_6 Depth=1
	s_or_b32 exec_lo, exec_lo, s6
.LBB2_10:                               ;   in Loop: Header=BB2_6 Depth=1
	s_or_b32 exec_lo, exec_lo, s1
	v_cmp_gt_f32_e32 vcc_lo, s11, v5
	v_cmp_ngt_f32_e64 s1, s7, v5
	s_xor_b32 s1, vcc_lo, s1
	s_xor_b32 s6, s1, -1
	s_and_saveexec_b32 s1, s6
	s_cbranch_execz .LBB2_14
; %bb.11:                               ;   in Loop: Header=BB2_6 Depth=1
	v_subrev_f32_e32 v9, s11, v5
	s_mov_b32 s6, exec_lo
	v_fma_f32 v8, v8, v9, s10
	v_cmpx_lt_f32_e32 v4, v8
; %bb.12:                               ;   in Loop: Header=BB2_6 Depth=1
	v_cmp_eq_u32_e32 vcc_lo, 0, v6
	v_cndmask_b32_e64 v6, 0, 1, vcc_lo
; %bb.13:                               ;   in Loop: Header=BB2_6 Depth=1
	s_or_b32 exec_lo, exec_lo, s6
.LBB2_14:                               ;   in Loop: Header=BB2_6 Depth=1
	s_or_b32 exec_lo, exec_lo, s1
	s_load_dwordx2 s[6:7], s[12:13], 0x8
	v_cmp_ngt_f32_e64 s1, s11, v3
	s_waitcnt lgkmcnt(0)
	v_sub_f32_e64 v8, s10, s6
	v_sub_f32_e64 v9, s11, s7
	v_div_scale_f32 v10, null, v9, v9, v8
	v_div_scale_f32 v13, vcc_lo, v8, v9, v8
	v_rcp_f32_e32 v11, v10
	v_fma_f32 v12, -v10, v11, 1.0
	v_fmac_f32_e32 v11, v12, v11
	v_mul_f32_e32 v12, v13, v11
	v_fma_f32 v14, -v10, v12, v13
	v_fmac_f32_e32 v12, v14, v11
	v_fma_f32 v10, -v10, v12, v13
	v_div_fmas_f32 v10, v10, v11, v12
	v_cmp_gt_f32_e32 vcc_lo, s7, v3
	v_div_fixup_f32 v8, v10, v9, v8
	s_xor_b32 s1, vcc_lo, s1
	s_xor_b32 s10, s1, -1
	s_and_saveexec_b32 s1, s10
	s_cbranch_execz .LBB2_18
; %bb.15:                               ;   in Loop: Header=BB2_6 Depth=1
	v_subrev_f32_e32 v9, s7, v3
	s_mov_b32 s10, exec_lo
	v_fma_f32 v9, v8, v9, s6
	v_cmpx_lt_f32_e32 v2, v9
; %bb.16:                               ;   in Loop: Header=BB2_6 Depth=1
	v_cmp_eq_u32_e32 vcc_lo, 0, v7
	v_cndmask_b32_e64 v7, 0, 1, vcc_lo
; %bb.17:                               ;   in Loop: Header=BB2_6 Depth=1
	s_or_b32 exec_lo, exec_lo, s10
.LBB2_18:                               ;   in Loop: Header=BB2_6 Depth=1
	s_or_b32 exec_lo, exec_lo, s1
	v_cmp_gt_f32_e32 vcc_lo, s7, v5
	v_cmp_ngt_f32_e64 s1, s11, v5
	s_xor_b32 s1, vcc_lo, s1
	s_xor_b32 s10, s1, -1
	s_and_saveexec_b32 s1, s10
	s_cbranch_execz .LBB2_5
; %bb.19:                               ;   in Loop: Header=BB2_6 Depth=1
	v_subrev_f32_e32 v9, s7, v5
	s_mov_b32 s10, exec_lo
	v_fma_f32 v8, v8, v9, s6
	v_cmpx_lt_f32_e32 v4, v8
	s_cbranch_execz .LBB2_4
; %bb.20:                               ;   in Loop: Header=BB2_6 Depth=1
	v_cmp_eq_u32_e32 vcc_lo, 0, v6
	v_cndmask_b32_e64 v6, 0, 1, vcc_lo
	s_branch .LBB2_4
.LBB2_21:
	v_lshlrev_b64 v[0:1], 2, v[0:1]
	v_add_co_u32 v0, vcc_lo, s8, v0
	v_add_co_ci_u32_e64 v1, null, s9, v1, vcc_lo
	global_store_dword v[0:1], v7, off
	s_and_b32 exec_lo, exec_lo, s0
	s_cbranch_execz .LBB2_23
; %bb.22:
	global_store_dword v[0:1], v6, off offset:1024
.LBB2_23:
	s_endpgm
	.section	.rodata,"a",@progbits
	.p2align	6, 0x0
	.amdhsa_kernel _Z10pnpoly_optILi2EEvPiPK15HIP_vector_typeIfLj2EES4_i
		.amdhsa_group_segment_fixed_size 0
		.amdhsa_private_segment_fixed_size 0
		.amdhsa_kernarg_size 28
		.amdhsa_user_sgpr_count 6
		.amdhsa_user_sgpr_private_segment_buffer 1
		.amdhsa_user_sgpr_dispatch_ptr 0
		.amdhsa_user_sgpr_queue_ptr 0
		.amdhsa_user_sgpr_kernarg_segment_ptr 1
		.amdhsa_user_sgpr_dispatch_id 0
		.amdhsa_user_sgpr_flat_scratch_init 0
		.amdhsa_user_sgpr_private_segment_size 0
		.amdhsa_wavefront_size32 1
		.amdhsa_uses_dynamic_stack 0
		.amdhsa_system_sgpr_private_segment_wavefront_offset 0
		.amdhsa_system_sgpr_workgroup_id_x 1
		.amdhsa_system_sgpr_workgroup_id_y 0
		.amdhsa_system_sgpr_workgroup_id_z 0
		.amdhsa_system_sgpr_workgroup_info 0
		.amdhsa_system_vgpr_workitem_id 0
		.amdhsa_next_free_vgpr 15
		.amdhsa_next_free_sgpr 14
		.amdhsa_reserve_vcc 1
		.amdhsa_reserve_flat_scratch 0
		.amdhsa_float_round_mode_32 0
		.amdhsa_float_round_mode_16_64 0
		.amdhsa_float_denorm_mode_32 3
		.amdhsa_float_denorm_mode_16_64 3
		.amdhsa_dx10_clamp 1
		.amdhsa_ieee_mode 1
		.amdhsa_fp16_overflow 0
		.amdhsa_workgroup_processor_mode 1
		.amdhsa_memory_ordered 1
		.amdhsa_forward_progress 1
		.amdhsa_shared_vgpr_count 0
		.amdhsa_exception_fp_ieee_invalid_op 0
		.amdhsa_exception_fp_denorm_src 0
		.amdhsa_exception_fp_ieee_div_zero 0
		.amdhsa_exception_fp_ieee_overflow 0
		.amdhsa_exception_fp_ieee_underflow 0
		.amdhsa_exception_fp_ieee_inexact 0
		.amdhsa_exception_int_div_zero 0
	.end_amdhsa_kernel
	.section	.text._Z10pnpoly_optILi2EEvPiPK15HIP_vector_typeIfLj2EES4_i,"axG",@progbits,_Z10pnpoly_optILi2EEvPiPK15HIP_vector_typeIfLj2EES4_i,comdat
.Lfunc_end2:
	.size	_Z10pnpoly_optILi2EEvPiPK15HIP_vector_typeIfLj2EES4_i, .Lfunc_end2-_Z10pnpoly_optILi2EEvPiPK15HIP_vector_typeIfLj2EES4_i
                                        ; -- End function
	.set _Z10pnpoly_optILi2EEvPiPK15HIP_vector_typeIfLj2EES4_i.num_vgpr, 15
	.set _Z10pnpoly_optILi2EEvPiPK15HIP_vector_typeIfLj2EES4_i.num_agpr, 0
	.set _Z10pnpoly_optILi2EEvPiPK15HIP_vector_typeIfLj2EES4_i.numbered_sgpr, 14
	.set _Z10pnpoly_optILi2EEvPiPK15HIP_vector_typeIfLj2EES4_i.num_named_barrier, 0
	.set _Z10pnpoly_optILi2EEvPiPK15HIP_vector_typeIfLj2EES4_i.private_seg_size, 0
	.set _Z10pnpoly_optILi2EEvPiPK15HIP_vector_typeIfLj2EES4_i.uses_vcc, 1
	.set _Z10pnpoly_optILi2EEvPiPK15HIP_vector_typeIfLj2EES4_i.uses_flat_scratch, 0
	.set _Z10pnpoly_optILi2EEvPiPK15HIP_vector_typeIfLj2EES4_i.has_dyn_sized_stack, 0
	.set _Z10pnpoly_optILi2EEvPiPK15HIP_vector_typeIfLj2EES4_i.has_recursion, 0
	.set _Z10pnpoly_optILi2EEvPiPK15HIP_vector_typeIfLj2EES4_i.has_indirect_call, 0
	.section	.AMDGPU.csdata,"",@progbits
; Kernel info:
; codeLenInByte = 736
; TotalNumSgprs: 16
; NumVgprs: 15
; ScratchSize: 0
; MemoryBound: 0
; FloatMode: 240
; IeeeMode: 1
; LDSByteSize: 0 bytes/workgroup (compile time only)
; SGPRBlocks: 0
; VGPRBlocks: 1
; NumSGPRsForWavesPerEU: 16
; NumVGPRsForWavesPerEU: 15
; Occupancy: 16
; WaveLimiterHint : 0
; COMPUTE_PGM_RSRC2:SCRATCH_EN: 0
; COMPUTE_PGM_RSRC2:USER_SGPR: 6
; COMPUTE_PGM_RSRC2:TRAP_HANDLER: 0
; COMPUTE_PGM_RSRC2:TGID_X_EN: 1
; COMPUTE_PGM_RSRC2:TGID_Y_EN: 0
; COMPUTE_PGM_RSRC2:TGID_Z_EN: 0
; COMPUTE_PGM_RSRC2:TIDIG_COMP_CNT: 0
	.section	.text._Z10pnpoly_optILi4EEvPiPK15HIP_vector_typeIfLj2EES4_i,"axG",@progbits,_Z10pnpoly_optILi4EEvPiPK15HIP_vector_typeIfLj2EES4_i,comdat
	.protected	_Z10pnpoly_optILi4EEvPiPK15HIP_vector_typeIfLj2EES4_i ; -- Begin function _Z10pnpoly_optILi4EEvPiPK15HIP_vector_typeIfLj2EES4_i
	.globl	_Z10pnpoly_optILi4EEvPiPK15HIP_vector_typeIfLj2EES4_i
	.p2align	8
	.type	_Z10pnpoly_optILi4EEvPiPK15HIP_vector_typeIfLj2EES4_i,@function
_Z10pnpoly_optILi4EEvPiPK15HIP_vector_typeIfLj2EES4_i: ; @_Z10pnpoly_optILi4EEvPiPK15HIP_vector_typeIfLj2EES4_i
; %bb.0:
	s_load_dword s2, s[4:5], 0x18
	v_lshl_or_b32 v0, s6, 10, v0
	s_mov_b32 s0, exec_lo
	s_waitcnt lgkmcnt(0)
	v_cmpx_gt_i32_e64 s2, v0
	s_cbranch_execz .LBB3_30
; %bb.1:
	s_load_dwordx2 s[0:1], s[4:5], 0x8
	v_ashrrev_i32_e32 v1, 31, v0
	v_add_nc_u32_e32 v4, 0x100, v0
	v_lshlrev_b64 v[2:3], 3, v[0:1]
	s_waitcnt lgkmcnt(0)
	v_add_co_u32 v10, vcc_lo, s0, v2
	v_add_co_ci_u32_e64 v11, null, s1, v3, vcc_lo
	v_cmp_gt_i32_e64 s0, s2, v4
                                        ; implicit-def: $vgpr5
	global_load_dwordx2 v[2:3], v[10:11], off
	s_and_saveexec_b32 s1, s0
	s_cbranch_execz .LBB3_3
; %bb.2:
	v_add_co_u32 v4, vcc_lo, 0x800, v10
	v_add_co_ci_u32_e64 v5, null, 0, v11, vcc_lo
	global_load_dwordx2 v[4:5], v[4:5], off
.LBB3_3:
	s_or_b32 exec_lo, exec_lo, s1
	s_load_dwordx2 s[6:7], s[4:5], 0x10
	v_add_nc_u32_e32 v6, 0x200, v0
	v_cmp_gt_i32_e64 s1, s2, v6
                                        ; implicit-def: $vgpr7
	s_and_saveexec_b32 s3, s1
	s_cbranch_execz .LBB3_5
; %bb.4:
	v_add_co_u32 v6, vcc_lo, 0x1000, v10
	v_add_co_ci_u32_e64 v7, null, 0, v11, vcc_lo
	global_load_dwordx2 v[6:7], v[6:7], off
.LBB3_5:
	s_or_b32 exec_lo, exec_lo, s3
	s_load_dwordx2 s[4:5], s[4:5], 0x0
	v_add_nc_u32_e32 v8, 0x300, v0
	v_cmp_gt_i32_e64 s2, s2, v8
                                        ; implicit-def: $vgpr9
	s_and_saveexec_b32 s3, s2
	s_cbranch_execz .LBB3_7
; %bb.6:
	v_add_co_u32 v8, vcc_lo, 0x1800, v10
	v_add_co_ci_u32_e64 v9, null, 0, v11, vcc_lo
	global_load_dwordx2 v[8:9], v[8:9], off
.LBB3_7:
	s_or_b32 exec_lo, exec_lo, s3
	s_waitcnt lgkmcnt(0)
	s_load_dwordx2 s[12:13], s[6:7], 0x12b8
	v_mov_b32_e32 v13, 0
	s_mov_b64 s[8:9], 0
	v_mov_b32_e32 v12, v13
	v_mov_b32_e32 v11, v13
	;; [unrolled: 1-line block ×3, first 2 shown]
	s_waitcnt lgkmcnt(0)
	s_mov_b32 s10, s12
.LBB3_8:                                ; =>This Inner Loop Header: Depth=1
	s_add_u32 s14, s6, s8
	s_addc_u32 s15, s7, s9
	s_mov_b32 s3, s10
	s_load_dwordx2 s[10:11], s[14:15], 0x0
	s_waitcnt lgkmcnt(0)
	v_sub_f32_e64 v14, s3, s10
	v_sub_f32_e64 v15, s13, s11
	s_waitcnt vmcnt(0)
	v_cmp_ngt_f32_e64 s3, s13, v3
	v_div_scale_f32 v16, null, v15, v15, v14
	v_div_scale_f32 v19, vcc_lo, v14, v15, v14
	v_rcp_f32_e32 v17, v16
	v_fma_f32 v18, -v16, v17, 1.0
	v_fmac_f32_e32 v17, v18, v17
	v_mul_f32_e32 v18, v19, v17
	v_fma_f32 v20, -v16, v18, v19
	v_fmac_f32_e32 v18, v20, v17
	v_fma_f32 v16, -v16, v18, v19
	v_div_fmas_f32 v16, v16, v17, v18
	v_cmp_gt_f32_e32 vcc_lo, s11, v3
	v_div_fixup_f32 v14, v16, v15, v14
	s_xor_b32 s3, vcc_lo, s3
	s_xor_b32 s12, s3, -1
	s_and_saveexec_b32 s3, s12
	s_cbranch_execz .LBB3_12
; %bb.9:                                ;   in Loop: Header=BB3_8 Depth=1
	v_subrev_f32_e32 v15, s11, v3
	s_mov_b32 s12, exec_lo
	v_fma_f32 v15, v14, v15, s10
	v_cmpx_lt_f32_e32 v2, v15
; %bb.10:                               ;   in Loop: Header=BB3_8 Depth=1
	v_cmp_eq_u32_e32 vcc_lo, 0, v13
	v_cndmask_b32_e64 v13, 0, 1, vcc_lo
; %bb.11:                               ;   in Loop: Header=BB3_8 Depth=1
	s_or_b32 exec_lo, exec_lo, s12
.LBB3_12:                               ;   in Loop: Header=BB3_8 Depth=1
	s_or_b32 exec_lo, exec_lo, s3
	v_cmp_gt_f32_e32 vcc_lo, s11, v5
	v_cmp_ngt_f32_e64 s3, s13, v5
	s_xor_b32 s3, vcc_lo, s3
	s_xor_b32 s12, s3, -1
	s_and_saveexec_b32 s3, s12
	s_cbranch_execz .LBB3_16
; %bb.13:                               ;   in Loop: Header=BB3_8 Depth=1
	v_subrev_f32_e32 v15, s11, v5
	s_mov_b32 s12, exec_lo
	v_fma_f32 v15, v14, v15, s10
	v_cmpx_lt_f32_e32 v4, v15
; %bb.14:                               ;   in Loop: Header=BB3_8 Depth=1
	v_cmp_eq_u32_e32 vcc_lo, 0, v12
	v_cndmask_b32_e64 v12, 0, 1, vcc_lo
; %bb.15:                               ;   in Loop: Header=BB3_8 Depth=1
	s_or_b32 exec_lo, exec_lo, s12
.LBB3_16:                               ;   in Loop: Header=BB3_8 Depth=1
	s_or_b32 exec_lo, exec_lo, s3
	v_cmp_gt_f32_e32 vcc_lo, s11, v7
	v_cmp_ngt_f32_e64 s3, s13, v7
	s_xor_b32 s3, vcc_lo, s3
	s_xor_b32 s12, s3, -1
	s_and_saveexec_b32 s3, s12
	s_cbranch_execz .LBB3_20
; %bb.17:                               ;   in Loop: Header=BB3_8 Depth=1
	v_subrev_f32_e32 v15, s11, v7
	s_mov_b32 s12, exec_lo
	v_fma_f32 v15, v14, v15, s10
	v_cmpx_lt_f32_e32 v6, v15
; %bb.18:                               ;   in Loop: Header=BB3_8 Depth=1
	v_cmp_eq_u32_e32 vcc_lo, 0, v11
	v_cndmask_b32_e64 v11, 0, 1, vcc_lo
; %bb.19:                               ;   in Loop: Header=BB3_8 Depth=1
	s_or_b32 exec_lo, exec_lo, s12
.LBB3_20:                               ;   in Loop: Header=BB3_8 Depth=1
	;; [unrolled: 18-line block ×3, first 2 shown]
	s_or_b32 exec_lo, exec_lo, s3
	s_add_u32 s8, s8, 8
	s_addc_u32 s9, s9, 0
	s_cmpk_lg_i32 s8, 0x12c0
	s_cbranch_scc0 .LBB3_26
; %bb.25:                               ;   in Loop: Header=BB3_8 Depth=1
	s_mov_b32 s13, s11
	s_branch .LBB3_8
.LBB3_26:
	v_lshlrev_b64 v[0:1], 2, v[0:1]
	v_add_co_u32 v0, vcc_lo, s4, v0
	v_add_co_ci_u32_e64 v1, null, s5, v1, vcc_lo
	global_store_dword v[0:1], v13, off
	s_and_saveexec_b32 s3, s0
	s_cbranch_execnz .LBB3_31
; %bb.27:
	s_or_b32 exec_lo, exec_lo, s3
	s_and_saveexec_b32 s0, s1
	s_cbranch_execnz .LBB3_32
.LBB3_28:
	s_or_b32 exec_lo, exec_lo, s0
	s_and_b32 exec_lo, exec_lo, s2
	s_cbranch_execz .LBB3_30
.LBB3_29:
	v_add_co_u32 v0, vcc_lo, 0x800, v0
	v_add_co_ci_u32_e64 v1, null, 0, v1, vcc_lo
	global_store_dword v[0:1], v10, off offset:1024
.LBB3_30:
	s_endpgm
.LBB3_31:
	global_store_dword v[0:1], v12, off offset:1024
	s_or_b32 exec_lo, exec_lo, s3
	s_and_saveexec_b32 s0, s1
	s_cbranch_execz .LBB3_28
.LBB3_32:
	v_add_co_u32 v2, vcc_lo, 0x800, v0
	v_add_co_ci_u32_e64 v3, null, 0, v1, vcc_lo
	global_store_dword v[2:3], v11, off
	s_or_b32 exec_lo, exec_lo, s0
	s_and_b32 exec_lo, exec_lo, s2
	s_cbranch_execnz .LBB3_29
	s_branch .LBB3_30
	.section	.rodata,"a",@progbits
	.p2align	6, 0x0
	.amdhsa_kernel _Z10pnpoly_optILi4EEvPiPK15HIP_vector_typeIfLj2EES4_i
		.amdhsa_group_segment_fixed_size 0
		.amdhsa_private_segment_fixed_size 0
		.amdhsa_kernarg_size 28
		.amdhsa_user_sgpr_count 6
		.amdhsa_user_sgpr_private_segment_buffer 1
		.amdhsa_user_sgpr_dispatch_ptr 0
		.amdhsa_user_sgpr_queue_ptr 0
		.amdhsa_user_sgpr_kernarg_segment_ptr 1
		.amdhsa_user_sgpr_dispatch_id 0
		.amdhsa_user_sgpr_flat_scratch_init 0
		.amdhsa_user_sgpr_private_segment_size 0
		.amdhsa_wavefront_size32 1
		.amdhsa_uses_dynamic_stack 0
		.amdhsa_system_sgpr_private_segment_wavefront_offset 0
		.amdhsa_system_sgpr_workgroup_id_x 1
		.amdhsa_system_sgpr_workgroup_id_y 0
		.amdhsa_system_sgpr_workgroup_id_z 0
		.amdhsa_system_sgpr_workgroup_info 0
		.amdhsa_system_vgpr_workitem_id 0
		.amdhsa_next_free_vgpr 21
		.amdhsa_next_free_sgpr 16
		.amdhsa_reserve_vcc 1
		.amdhsa_reserve_flat_scratch 0
		.amdhsa_float_round_mode_32 0
		.amdhsa_float_round_mode_16_64 0
		.amdhsa_float_denorm_mode_32 3
		.amdhsa_float_denorm_mode_16_64 3
		.amdhsa_dx10_clamp 1
		.amdhsa_ieee_mode 1
		.amdhsa_fp16_overflow 0
		.amdhsa_workgroup_processor_mode 1
		.amdhsa_memory_ordered 1
		.amdhsa_forward_progress 1
		.amdhsa_shared_vgpr_count 0
		.amdhsa_exception_fp_ieee_invalid_op 0
		.amdhsa_exception_fp_denorm_src 0
		.amdhsa_exception_fp_ieee_div_zero 0
		.amdhsa_exception_fp_ieee_overflow 0
		.amdhsa_exception_fp_ieee_underflow 0
		.amdhsa_exception_fp_ieee_inexact 0
		.amdhsa_exception_int_div_zero 0
	.end_amdhsa_kernel
	.section	.text._Z10pnpoly_optILi4EEvPiPK15HIP_vector_typeIfLj2EES4_i,"axG",@progbits,_Z10pnpoly_optILi4EEvPiPK15HIP_vector_typeIfLj2EES4_i,comdat
.Lfunc_end3:
	.size	_Z10pnpoly_optILi4EEvPiPK15HIP_vector_typeIfLj2EES4_i, .Lfunc_end3-_Z10pnpoly_optILi4EEvPiPK15HIP_vector_typeIfLj2EES4_i
                                        ; -- End function
	.set _Z10pnpoly_optILi4EEvPiPK15HIP_vector_typeIfLj2EES4_i.num_vgpr, 21
	.set _Z10pnpoly_optILi4EEvPiPK15HIP_vector_typeIfLj2EES4_i.num_agpr, 0
	.set _Z10pnpoly_optILi4EEvPiPK15HIP_vector_typeIfLj2EES4_i.numbered_sgpr, 16
	.set _Z10pnpoly_optILi4EEvPiPK15HIP_vector_typeIfLj2EES4_i.num_named_barrier, 0
	.set _Z10pnpoly_optILi4EEvPiPK15HIP_vector_typeIfLj2EES4_i.private_seg_size, 0
	.set _Z10pnpoly_optILi4EEvPiPK15HIP_vector_typeIfLj2EES4_i.uses_vcc, 1
	.set _Z10pnpoly_optILi4EEvPiPK15HIP_vector_typeIfLj2EES4_i.uses_flat_scratch, 0
	.set _Z10pnpoly_optILi4EEvPiPK15HIP_vector_typeIfLj2EES4_i.has_dyn_sized_stack, 0
	.set _Z10pnpoly_optILi4EEvPiPK15HIP_vector_typeIfLj2EES4_i.has_recursion, 0
	.set _Z10pnpoly_optILi4EEvPiPK15HIP_vector_typeIfLj2EES4_i.has_indirect_call, 0
	.section	.AMDGPU.csdata,"",@progbits
; Kernel info:
; codeLenInByte = 880
; TotalNumSgprs: 18
; NumVgprs: 21
; ScratchSize: 0
; MemoryBound: 0
; FloatMode: 240
; IeeeMode: 1
; LDSByteSize: 0 bytes/workgroup (compile time only)
; SGPRBlocks: 0
; VGPRBlocks: 2
; NumSGPRsForWavesPerEU: 18
; NumVGPRsForWavesPerEU: 21
; Occupancy: 16
; WaveLimiterHint : 0
; COMPUTE_PGM_RSRC2:SCRATCH_EN: 0
; COMPUTE_PGM_RSRC2:USER_SGPR: 6
; COMPUTE_PGM_RSRC2:TRAP_HANDLER: 0
; COMPUTE_PGM_RSRC2:TGID_X_EN: 1
; COMPUTE_PGM_RSRC2:TGID_Y_EN: 0
; COMPUTE_PGM_RSRC2:TGID_Z_EN: 0
; COMPUTE_PGM_RSRC2:TIDIG_COMP_CNT: 0
	.section	.text._Z10pnpoly_optILi8EEvPiPK15HIP_vector_typeIfLj2EES4_i,"axG",@progbits,_Z10pnpoly_optILi8EEvPiPK15HIP_vector_typeIfLj2EES4_i,comdat
	.protected	_Z10pnpoly_optILi8EEvPiPK15HIP_vector_typeIfLj2EES4_i ; -- Begin function _Z10pnpoly_optILi8EEvPiPK15HIP_vector_typeIfLj2EES4_i
	.globl	_Z10pnpoly_optILi8EEvPiPK15HIP_vector_typeIfLj2EES4_i
	.p2align	8
	.type	_Z10pnpoly_optILi8EEvPiPK15HIP_vector_typeIfLj2EES4_i,@function
_Z10pnpoly_optILi8EEvPiPK15HIP_vector_typeIfLj2EES4_i: ; @_Z10pnpoly_optILi8EEvPiPK15HIP_vector_typeIfLj2EES4_i
; %bb.0:
	s_load_dword s12, s[4:5], 0x18
	v_lshl_or_b32 v0, s6, 11, v0
	s_mov_b32 s0, exec_lo
	s_waitcnt lgkmcnt(0)
	v_cmpx_gt_i32_e64 s12, v0
	s_cbranch_execz .LBB4_58
; %bb.1:
	s_load_dwordx2 s[6:7], s[4:5], 0x8
	v_ashrrev_i32_e32 v1, 31, v0
	v_add_nc_u32_e32 v4, 0x100, v0
	v_lshlrev_b64 v[2:3], 3, v[0:1]
	v_cmp_gt_i32_e64 s0, s12, v4
                                        ; implicit-def: $vgpr5
	s_waitcnt lgkmcnt(0)
	v_add_co_u32 v20, vcc_lo, s6, v2
	v_add_co_ci_u32_e64 v21, null, s7, v3, vcc_lo
	global_load_dwordx2 v[2:3], v[20:21], off
	s_and_saveexec_b32 s1, s0
	s_cbranch_execz .LBB4_3
; %bb.2:
	v_add_co_u32 v4, vcc_lo, 0x800, v20
	v_add_co_ci_u32_e64 v5, null, 0, v21, vcc_lo
	global_load_dwordx2 v[4:5], v[4:5], off
.LBB4_3:
	s_or_b32 exec_lo, exec_lo, s1
	v_add_nc_u32_e32 v6, 0x200, v0
                                        ; implicit-def: $vgpr9
	v_cmp_gt_i32_e64 s1, s12, v6
	s_and_saveexec_b32 s2, s1
	s_cbranch_execz .LBB4_5
; %bb.4:
	v_add_co_u32 v6, vcc_lo, 0x1000, v20
	v_add_co_ci_u32_e64 v7, null, 0, v21, vcc_lo
	global_load_dwordx2 v[8:9], v[6:7], off
.LBB4_5:
	s_or_b32 exec_lo, exec_lo, s2
	v_add_nc_u32_e32 v6, 0x300, v0
                                        ; implicit-def: $vgpr11
	v_cmp_gt_i32_e64 s2, s12, v6
	s_and_saveexec_b32 s3, s2
	s_cbranch_execz .LBB4_7
; %bb.6:
	v_add_co_u32 v6, vcc_lo, 0x1800, v20
	v_add_co_ci_u32_e64 v7, null, 0, v21, vcc_lo
	global_load_dwordx2 v[10:11], v[6:7], off
.LBB4_7:
	s_or_b32 exec_lo, exec_lo, s3
	v_or_b32_e32 v6, 0x400, v0
                                        ; implicit-def: $vgpr13
	v_cmp_gt_i32_e64 s3, s12, v6
	v_ashrrev_i32_e32 v7, 31, v6
	s_and_saveexec_b32 s8, s3
	s_cbranch_execz .LBB4_9
; %bb.8:
	v_lshlrev_b64 v[12:13], 3, v[6:7]
	v_add_co_u32 v12, vcc_lo, s6, v12
	v_add_co_ci_u32_e64 v13, null, s7, v13, vcc_lo
	global_load_dwordx2 v[12:13], v[12:13], off
.LBB4_9:
	s_or_b32 exec_lo, exec_lo, s8
	v_add_nc_u32_e32 v14, 0x500, v0
	v_cmp_gt_i32_e64 s6, s12, v14
                                        ; implicit-def: $vgpr15
	s_and_saveexec_b32 s7, s6
	s_cbranch_execz .LBB4_11
; %bb.10:
	v_add_co_u32 v14, vcc_lo, 0x2800, v20
	v_add_co_ci_u32_e64 v15, null, 0, v21, vcc_lo
	global_load_dwordx2 v[14:15], v[14:15], off
.LBB4_11:
	s_or_b32 exec_lo, exec_lo, s7
	s_load_dwordx2 s[10:11], s[4:5], 0x10
	v_add_nc_u32_e32 v16, 0x600, v0
	v_cmp_gt_i32_e64 s7, s12, v16
                                        ; implicit-def: $vgpr17
	s_and_saveexec_b32 s8, s7
	s_cbranch_execz .LBB4_13
; %bb.12:
	v_add_co_u32 v16, vcc_lo, 0x3000, v20
	v_add_co_ci_u32_e64 v17, null, 0, v21, vcc_lo
	global_load_dwordx2 v[16:17], v[16:17], off
.LBB4_13:
	s_or_b32 exec_lo, exec_lo, s8
	s_load_dwordx2 s[8:9], s[4:5], 0x0
	v_add_nc_u32_e32 v18, 0x700, v0
	v_cmp_gt_i32_e64 s4, s12, v18
                                        ; implicit-def: $vgpr19
	s_and_saveexec_b32 s5, s4
	s_cbranch_execz .LBB4_15
; %bb.14:
	v_add_co_u32 v18, vcc_lo, 0x3800, v20
	v_add_co_ci_u32_e64 v19, null, 0, v21, vcc_lo
	global_load_dwordx2 v[18:19], v[18:19], off
.LBB4_15:
	s_or_b32 exec_lo, exec_lo, s5
	s_waitcnt lgkmcnt(0)
	s_load_dwordx2 s[16:17], s[10:11], 0x12b8
	v_mov_b32_e32 v27, 0
	s_mov_b64 s[12:13], 0
	v_mov_b32_e32 v26, v27
	v_mov_b32_e32 v25, v27
	;; [unrolled: 1-line block ×7, first 2 shown]
	s_waitcnt lgkmcnt(0)
	s_mov_b32 s14, s16
.LBB4_16:                               ; =>This Inner Loop Header: Depth=1
	s_add_u32 s18, s10, s12
	s_addc_u32 s19, s11, s13
	s_mov_b32 s5, s14
	s_load_dwordx2 s[14:15], s[18:19], 0x0
	s_waitcnt lgkmcnt(0)
	v_sub_f32_e64 v28, s5, s14
	v_sub_f32_e64 v29, s17, s15
	s_waitcnt vmcnt(0)
	v_cmp_ngt_f32_e64 s5, s17, v3
	v_div_scale_f32 v30, null, v29, v29, v28
	v_div_scale_f32 v33, vcc_lo, v28, v29, v28
	v_rcp_f32_e32 v31, v30
	v_fma_f32 v32, -v30, v31, 1.0
	v_fmac_f32_e32 v31, v32, v31
	v_mul_f32_e32 v32, v33, v31
	v_fma_f32 v34, -v30, v32, v33
	v_fmac_f32_e32 v32, v34, v31
	v_fma_f32 v30, -v30, v32, v33
	v_div_fmas_f32 v30, v30, v31, v32
	v_cmp_gt_f32_e32 vcc_lo, s15, v3
	v_div_fixup_f32 v28, v30, v29, v28
	s_xor_b32 s5, vcc_lo, s5
	s_xor_b32 s16, s5, -1
	s_and_saveexec_b32 s5, s16
	s_cbranch_execz .LBB4_20
; %bb.17:                               ;   in Loop: Header=BB4_16 Depth=1
	v_subrev_f32_e32 v29, s15, v3
	s_mov_b32 s16, exec_lo
	v_fma_f32 v29, v28, v29, s14
	v_cmpx_lt_f32_e32 v2, v29
; %bb.18:                               ;   in Loop: Header=BB4_16 Depth=1
	v_cmp_eq_u32_e32 vcc_lo, 0, v27
	v_cndmask_b32_e64 v27, 0, 1, vcc_lo
; %bb.19:                               ;   in Loop: Header=BB4_16 Depth=1
	s_or_b32 exec_lo, exec_lo, s16
.LBB4_20:                               ;   in Loop: Header=BB4_16 Depth=1
	s_or_b32 exec_lo, exec_lo, s5
	v_cmp_gt_f32_e32 vcc_lo, s15, v5
	v_cmp_ngt_f32_e64 s5, s17, v5
	s_xor_b32 s5, vcc_lo, s5
	s_xor_b32 s16, s5, -1
	s_and_saveexec_b32 s5, s16
	s_cbranch_execz .LBB4_24
; %bb.21:                               ;   in Loop: Header=BB4_16 Depth=1
	v_subrev_f32_e32 v29, s15, v5
	s_mov_b32 s16, exec_lo
	v_fma_f32 v29, v28, v29, s14
	v_cmpx_lt_f32_e32 v4, v29
; %bb.22:                               ;   in Loop: Header=BB4_16 Depth=1
	v_cmp_eq_u32_e32 vcc_lo, 0, v26
	v_cndmask_b32_e64 v26, 0, 1, vcc_lo
; %bb.23:                               ;   in Loop: Header=BB4_16 Depth=1
	s_or_b32 exec_lo, exec_lo, s16
.LBB4_24:                               ;   in Loop: Header=BB4_16 Depth=1
	s_or_b32 exec_lo, exec_lo, s5
	v_cmp_gt_f32_e32 vcc_lo, s15, v9
	v_cmp_ngt_f32_e64 s5, s17, v9
	;; [unrolled: 18-line block ×7, first 2 shown]
	s_xor_b32 s5, vcc_lo, s5
	s_xor_b32 s16, s5, -1
	s_and_saveexec_b32 s5, s16
	s_cbranch_execz .LBB4_48
; %bb.45:                               ;   in Loop: Header=BB4_16 Depth=1
	v_subrev_f32_e32 v29, s15, v19
	s_mov_b32 s16, exec_lo
	v_fma_f32 v28, v28, v29, s14
	v_cmpx_lt_f32_e32 v18, v28
; %bb.46:                               ;   in Loop: Header=BB4_16 Depth=1
	v_cmp_eq_u32_e32 vcc_lo, 0, v20
	v_cndmask_b32_e64 v20, 0, 1, vcc_lo
; %bb.47:                               ;   in Loop: Header=BB4_16 Depth=1
	s_or_b32 exec_lo, exec_lo, s16
.LBB4_48:                               ;   in Loop: Header=BB4_16 Depth=1
	s_or_b32 exec_lo, exec_lo, s5
	s_add_u32 s12, s12, 8
	s_addc_u32 s13, s13, 0
	s_cmpk_lg_i32 s12, 0x12c0
	s_cbranch_scc0 .LBB4_50
; %bb.49:                               ;   in Loop: Header=BB4_16 Depth=1
	s_mov_b32 s17, s15
	s_branch .LBB4_16
.LBB4_50:
	v_lshlrev_b64 v[0:1], 2, v[0:1]
	v_add_co_u32 v0, vcc_lo, s8, v0
	v_add_co_ci_u32_e64 v1, null, s9, v1, vcc_lo
	global_store_dword v[0:1], v27, off
	s_and_saveexec_b32 s5, s0
	s_cbranch_execnz .LBB4_59
; %bb.51:
	s_or_b32 exec_lo, exec_lo, s5
	s_and_saveexec_b32 s0, s1
	s_cbranch_execnz .LBB4_60
.LBB4_52:
	s_or_b32 exec_lo, exec_lo, s0
	s_and_saveexec_b32 s0, s2
	s_cbranch_execnz .LBB4_61
.LBB4_53:
	s_or_b32 exec_lo, exec_lo, s0
	s_and_saveexec_b32 s0, s3
	s_cbranch_execnz .LBB4_62
.LBB4_54:
	s_or_b32 exec_lo, exec_lo, s0
	s_and_saveexec_b32 s0, s6
	s_cbranch_execnz .LBB4_63
.LBB4_55:
	s_or_b32 exec_lo, exec_lo, s0
	s_and_saveexec_b32 s0, s7
	s_cbranch_execnz .LBB4_64
.LBB4_56:
	s_or_b32 exec_lo, exec_lo, s0
	s_and_b32 exec_lo, exec_lo, s4
	s_cbranch_execz .LBB4_58
.LBB4_57:
	v_add_co_u32 v0, vcc_lo, 0x1800, v0
	v_add_co_ci_u32_e64 v1, null, 0, v1, vcc_lo
	global_store_dword v[0:1], v20, off offset:1024
.LBB4_58:
	s_endpgm
.LBB4_59:
	global_store_dword v[0:1], v26, off offset:1024
	s_or_b32 exec_lo, exec_lo, s5
	s_and_saveexec_b32 s0, s1
	s_cbranch_execz .LBB4_52
.LBB4_60:
	v_add_co_u32 v2, vcc_lo, 0x800, v0
	v_add_co_ci_u32_e64 v3, null, 0, v1, vcc_lo
	global_store_dword v[2:3], v25, off
	s_or_b32 exec_lo, exec_lo, s0
	s_and_saveexec_b32 s0, s2
	s_cbranch_execz .LBB4_53
.LBB4_61:
	v_add_co_u32 v2, vcc_lo, 0x800, v0
	v_add_co_ci_u32_e64 v3, null, 0, v1, vcc_lo
	global_store_dword v[2:3], v24, off offset:1024
	s_or_b32 exec_lo, exec_lo, s0
	s_and_saveexec_b32 s0, s3
	s_cbranch_execz .LBB4_54
.LBB4_62:
	v_lshlrev_b64 v[2:3], 2, v[6:7]
	v_add_co_u32 v2, vcc_lo, s8, v2
	v_add_co_ci_u32_e64 v3, null, s9, v3, vcc_lo
	global_store_dword v[2:3], v23, off
	s_or_b32 exec_lo, exec_lo, s0
	s_and_saveexec_b32 s0, s6
	s_cbranch_execz .LBB4_55
.LBB4_63:
	v_add_co_u32 v2, vcc_lo, 0x1000, v0
	v_add_co_ci_u32_e64 v3, null, 0, v1, vcc_lo
	global_store_dword v[2:3], v22, off offset:1024
	s_or_b32 exec_lo, exec_lo, s0
	s_and_saveexec_b32 s0, s7
	s_cbranch_execz .LBB4_56
.LBB4_64:
	v_add_co_u32 v2, vcc_lo, 0x1800, v0
	v_add_co_ci_u32_e64 v3, null, 0, v1, vcc_lo
	global_store_dword v[2:3], v21, off
	s_or_b32 exec_lo, exec_lo, s0
	s_and_b32 exec_lo, exec_lo, s4
	s_cbranch_execnz .LBB4_57
	s_branch .LBB4_58
	.section	.rodata,"a",@progbits
	.p2align	6, 0x0
	.amdhsa_kernel _Z10pnpoly_optILi8EEvPiPK15HIP_vector_typeIfLj2EES4_i
		.amdhsa_group_segment_fixed_size 0
		.amdhsa_private_segment_fixed_size 0
		.amdhsa_kernarg_size 28
		.amdhsa_user_sgpr_count 6
		.amdhsa_user_sgpr_private_segment_buffer 1
		.amdhsa_user_sgpr_dispatch_ptr 0
		.amdhsa_user_sgpr_queue_ptr 0
		.amdhsa_user_sgpr_kernarg_segment_ptr 1
		.amdhsa_user_sgpr_dispatch_id 0
		.amdhsa_user_sgpr_flat_scratch_init 0
		.amdhsa_user_sgpr_private_segment_size 0
		.amdhsa_wavefront_size32 1
		.amdhsa_uses_dynamic_stack 0
		.amdhsa_system_sgpr_private_segment_wavefront_offset 0
		.amdhsa_system_sgpr_workgroup_id_x 1
		.amdhsa_system_sgpr_workgroup_id_y 0
		.amdhsa_system_sgpr_workgroup_id_z 0
		.amdhsa_system_sgpr_workgroup_info 0
		.amdhsa_system_vgpr_workitem_id 0
		.amdhsa_next_free_vgpr 35
		.amdhsa_next_free_sgpr 20
		.amdhsa_reserve_vcc 1
		.amdhsa_reserve_flat_scratch 0
		.amdhsa_float_round_mode_32 0
		.amdhsa_float_round_mode_16_64 0
		.amdhsa_float_denorm_mode_32 3
		.amdhsa_float_denorm_mode_16_64 3
		.amdhsa_dx10_clamp 1
		.amdhsa_ieee_mode 1
		.amdhsa_fp16_overflow 0
		.amdhsa_workgroup_processor_mode 1
		.amdhsa_memory_ordered 1
		.amdhsa_forward_progress 1
		.amdhsa_shared_vgpr_count 0
		.amdhsa_exception_fp_ieee_invalid_op 0
		.amdhsa_exception_fp_denorm_src 0
		.amdhsa_exception_fp_ieee_div_zero 0
		.amdhsa_exception_fp_ieee_overflow 0
		.amdhsa_exception_fp_ieee_underflow 0
		.amdhsa_exception_fp_ieee_inexact 0
		.amdhsa_exception_int_div_zero 0
	.end_amdhsa_kernel
	.section	.text._Z10pnpoly_optILi8EEvPiPK15HIP_vector_typeIfLj2EES4_i,"axG",@progbits,_Z10pnpoly_optILi8EEvPiPK15HIP_vector_typeIfLj2EES4_i,comdat
.Lfunc_end4:
	.size	_Z10pnpoly_optILi8EEvPiPK15HIP_vector_typeIfLj2EES4_i, .Lfunc_end4-_Z10pnpoly_optILi8EEvPiPK15HIP_vector_typeIfLj2EES4_i
                                        ; -- End function
	.set _Z10pnpoly_optILi8EEvPiPK15HIP_vector_typeIfLj2EES4_i.num_vgpr, 35
	.set _Z10pnpoly_optILi8EEvPiPK15HIP_vector_typeIfLj2EES4_i.num_agpr, 0
	.set _Z10pnpoly_optILi8EEvPiPK15HIP_vector_typeIfLj2EES4_i.numbered_sgpr, 20
	.set _Z10pnpoly_optILi8EEvPiPK15HIP_vector_typeIfLj2EES4_i.num_named_barrier, 0
	.set _Z10pnpoly_optILi8EEvPiPK15HIP_vector_typeIfLj2EES4_i.private_seg_size, 0
	.set _Z10pnpoly_optILi8EEvPiPK15HIP_vector_typeIfLj2EES4_i.uses_vcc, 1
	.set _Z10pnpoly_optILi8EEvPiPK15HIP_vector_typeIfLj2EES4_i.uses_flat_scratch, 0
	.set _Z10pnpoly_optILi8EEvPiPK15HIP_vector_typeIfLj2EES4_i.has_dyn_sized_stack, 0
	.set _Z10pnpoly_optILi8EEvPiPK15HIP_vector_typeIfLj2EES4_i.has_recursion, 0
	.set _Z10pnpoly_optILi8EEvPiPK15HIP_vector_typeIfLj2EES4_i.has_indirect_call, 0
	.section	.AMDGPU.csdata,"",@progbits
; Kernel info:
; codeLenInByte = 1612
; TotalNumSgprs: 22
; NumVgprs: 35
; ScratchSize: 0
; MemoryBound: 0
; FloatMode: 240
; IeeeMode: 1
; LDSByteSize: 0 bytes/workgroup (compile time only)
; SGPRBlocks: 0
; VGPRBlocks: 4
; NumSGPRsForWavesPerEU: 22
; NumVGPRsForWavesPerEU: 35
; Occupancy: 16
; WaveLimiterHint : 0
; COMPUTE_PGM_RSRC2:SCRATCH_EN: 0
; COMPUTE_PGM_RSRC2:USER_SGPR: 6
; COMPUTE_PGM_RSRC2:TRAP_HANDLER: 0
; COMPUTE_PGM_RSRC2:TGID_X_EN: 1
; COMPUTE_PGM_RSRC2:TGID_Y_EN: 0
; COMPUTE_PGM_RSRC2:TGID_Z_EN: 0
; COMPUTE_PGM_RSRC2:TIDIG_COMP_CNT: 0
	.section	.text._Z10pnpoly_optILi16EEvPiPK15HIP_vector_typeIfLj2EES4_i,"axG",@progbits,_Z10pnpoly_optILi16EEvPiPK15HIP_vector_typeIfLj2EES4_i,comdat
	.protected	_Z10pnpoly_optILi16EEvPiPK15HIP_vector_typeIfLj2EES4_i ; -- Begin function _Z10pnpoly_optILi16EEvPiPK15HIP_vector_typeIfLj2EES4_i
	.globl	_Z10pnpoly_optILi16EEvPiPK15HIP_vector_typeIfLj2EES4_i
	.p2align	8
	.type	_Z10pnpoly_optILi16EEvPiPK15HIP_vector_typeIfLj2EES4_i,@function
_Z10pnpoly_optILi16EEvPiPK15HIP_vector_typeIfLj2EES4_i: ; @_Z10pnpoly_optILi16EEvPiPK15HIP_vector_typeIfLj2EES4_i
; %bb.0:
	s_load_dword s20, s[4:5], 0x18
	v_lshl_or_b32 v0, s6, 12, v0
	s_mov_b32 s0, exec_lo
	s_waitcnt lgkmcnt(0)
	v_cmpx_gt_i32_e64 s20, v0
	s_cbranch_execz .LBB5_114
; %bb.1:
	s_load_dwordx2 s[14:15], s[4:5], 0x8
	v_ashrrev_i32_e32 v1, 31, v0
	v_add_nc_u32_e32 v4, 0x100, v0
	v_lshlrev_b64 v[2:3], 3, v[0:1]
	v_cmp_gt_i32_e64 s0, s20, v4
                                        ; implicit-def: $vgpr5
	s_waitcnt lgkmcnt(0)
	v_add_co_u32 v40, vcc_lo, s14, v2
	v_add_co_ci_u32_e64 v41, null, s15, v3, vcc_lo
	global_load_dwordx2 v[2:3], v[40:41], off
	s_and_saveexec_b32 s1, s0
	s_cbranch_execz .LBB5_3
; %bb.2:
	v_add_co_u32 v4, vcc_lo, 0x800, v40
	v_add_co_ci_u32_e64 v5, null, 0, v41, vcc_lo
	global_load_dwordx2 v[4:5], v[4:5], off
.LBB5_3:
	s_or_b32 exec_lo, exec_lo, s1
	v_add_nc_u32_e32 v6, 0x200, v0
                                        ; implicit-def: $vgpr9
	v_cmp_gt_i32_e64 s1, s20, v6
	s_and_saveexec_b32 s2, s1
	s_cbranch_execz .LBB5_5
; %bb.4:
	v_add_co_u32 v6, vcc_lo, 0x1000, v40
	v_add_co_ci_u32_e64 v7, null, 0, v41, vcc_lo
	global_load_dwordx2 v[8:9], v[6:7], off
.LBB5_5:
	s_or_b32 exec_lo, exec_lo, s2
	v_add_nc_u32_e32 v6, 0x300, v0
                                        ; implicit-def: $vgpr11
	v_cmp_gt_i32_e64 s2, s20, v6
	s_and_saveexec_b32 s3, s2
	s_cbranch_execz .LBB5_7
; %bb.6:
	v_add_co_u32 v6, vcc_lo, 0x1800, v40
	v_add_co_ci_u32_e64 v7, null, 0, v41, vcc_lo
	global_load_dwordx2 v[10:11], v[6:7], off
.LBB5_7:
	s_or_b32 exec_lo, exec_lo, s3
	v_or_b32_e32 v6, 0x400, v0
                                        ; implicit-def: $vgpr15
	v_cmp_gt_i32_e64 s3, s20, v6
	v_ashrrev_i32_e32 v7, 31, v6
	s_and_saveexec_b32 s6, s3
	s_cbranch_execz .LBB5_9
; %bb.8:
	v_lshlrev_b64 v[12:13], 3, v[6:7]
	v_add_co_u32 v12, vcc_lo, s14, v12
	v_add_co_ci_u32_e64 v13, null, s15, v13, vcc_lo
	global_load_dwordx2 v[14:15], v[12:13], off
.LBB5_9:
	s_or_b32 exec_lo, exec_lo, s6
	v_add_nc_u32_e32 v12, 0x500, v0
                                        ; implicit-def: $vgpr19
	v_cmp_gt_i32_e64 s6, s20, v12
	s_and_saveexec_b32 s7, s6
	s_cbranch_execz .LBB5_11
; %bb.10:
	v_add_co_u32 v12, vcc_lo, 0x2800, v40
	v_add_co_ci_u32_e64 v13, null, 0, v41, vcc_lo
	global_load_dwordx2 v[18:19], v[12:13], off
.LBB5_11:
	s_or_b32 exec_lo, exec_lo, s7
	v_add_nc_u32_e32 v12, 0x600, v0
                                        ; implicit-def: $vgpr21
	v_cmp_gt_i32_e64 s7, s20, v12
	s_and_saveexec_b32 s8, s7
	s_cbranch_execz .LBB5_13
; %bb.12:
	v_add_co_u32 v12, vcc_lo, 0x3000, v40
	v_add_co_ci_u32_e64 v13, null, 0, v41, vcc_lo
	global_load_dwordx2 v[20:21], v[12:13], off
.LBB5_13:
	s_or_b32 exec_lo, exec_lo, s8
	v_add_nc_u32_e32 v12, 0x700, v0
                                        ; implicit-def: $vgpr23
	v_cmp_gt_i32_e64 s8, s20, v12
	s_and_saveexec_b32 s9, s8
	s_cbranch_execz .LBB5_15
; %bb.14:
	v_add_co_u32 v12, vcc_lo, 0x3800, v40
	v_add_co_ci_u32_e64 v13, null, 0, v41, vcc_lo
	global_load_dwordx2 v[22:23], v[12:13], off
.LBB5_15:
	s_or_b32 exec_lo, exec_lo, s9
	v_or_b32_e32 v12, 0x800, v0
                                        ; implicit-def: $vgpr25
	v_cmp_gt_i32_e64 s9, s20, v12
	v_ashrrev_i32_e32 v13, 31, v12
	s_and_saveexec_b32 s10, s9
	s_cbranch_execz .LBB5_17
; %bb.16:
	v_lshlrev_b64 v[16:17], 3, v[12:13]
	v_add_co_u32 v16, vcc_lo, s14, v16
	v_add_co_ci_u32_e64 v17, null, s15, v17, vcc_lo
	global_load_dwordx2 v[24:25], v[16:17], off
.LBB5_17:
	s_or_b32 exec_lo, exec_lo, s10
	v_add_nc_u32_e32 v16, 0x900, v0
                                        ; implicit-def: $vgpr27
	v_cmp_gt_i32_e64 s10, s20, v16
	s_and_saveexec_b32 s11, s10
	s_cbranch_execz .LBB5_19
; %bb.18:
	v_add_co_u32 v16, vcc_lo, 0x4800, v40
	v_add_co_ci_u32_e64 v17, null, 0, v41, vcc_lo
	global_load_dwordx2 v[26:27], v[16:17], off
.LBB5_19:
	s_or_b32 exec_lo, exec_lo, s11
	v_add_nc_u32_e32 v16, 0xa00, v0
                                        ; implicit-def: $vgpr29
	v_cmp_gt_i32_e64 s11, s20, v16
	s_and_saveexec_b32 s12, s11
	s_cbranch_execz .LBB5_21
; %bb.20:
	v_add_co_u32 v16, vcc_lo, 0x5000, v40
	v_add_co_ci_u32_e64 v17, null, 0, v41, vcc_lo
	global_load_dwordx2 v[28:29], v[16:17], off
.LBB5_21:
	s_or_b32 exec_lo, exec_lo, s12
	v_add_nc_u32_e32 v16, 0xb00, v0
                                        ; implicit-def: $vgpr31
	v_cmp_gt_i32_e64 s12, s20, v16
	s_and_saveexec_b32 s13, s12
	s_cbranch_execz .LBB5_23
; %bb.22:
	v_add_co_u32 v16, vcc_lo, 0x5800, v40
	v_add_co_ci_u32_e64 v17, null, 0, v41, vcc_lo
	global_load_dwordx2 v[30:31], v[16:17], off
.LBB5_23:
	s_or_b32 exec_lo, exec_lo, s13
	v_or_b32_e32 v16, 0xc00, v0
                                        ; implicit-def: $vgpr33
	v_cmp_gt_i32_e64 s13, s20, v16
	v_ashrrev_i32_e32 v17, 31, v16
	s_and_saveexec_b32 s16, s13
	s_cbranch_execz .LBB5_25
; %bb.24:
	v_lshlrev_b64 v[32:33], 3, v[16:17]
	v_add_co_u32 v32, vcc_lo, s14, v32
	v_add_co_ci_u32_e64 v33, null, s15, v33, vcc_lo
	global_load_dwordx2 v[32:33], v[32:33], off
.LBB5_25:
	s_or_b32 exec_lo, exec_lo, s16
	v_add_nc_u32_e32 v34, 0xd00, v0
	v_cmp_gt_i32_e64 s14, s20, v34
                                        ; implicit-def: $vgpr35
	s_and_saveexec_b32 s15, s14
	s_cbranch_execz .LBB5_27
; %bb.26:
	v_add_co_u32 v34, vcc_lo, 0x6800, v40
	v_add_co_ci_u32_e64 v35, null, 0, v41, vcc_lo
	global_load_dwordx2 v[34:35], v[34:35], off
.LBB5_27:
	s_or_b32 exec_lo, exec_lo, s15
	s_load_dwordx2 s[18:19], s[4:5], 0x10
	v_add_nc_u32_e32 v36, 0xe00, v0
	v_cmp_gt_i32_e64 s15, s20, v36
                                        ; implicit-def: $vgpr37
	s_and_saveexec_b32 s16, s15
	s_cbranch_execz .LBB5_29
; %bb.28:
	v_add_co_u32 v36, vcc_lo, 0x7000, v40
	v_add_co_ci_u32_e64 v37, null, 0, v41, vcc_lo
	global_load_dwordx2 v[36:37], v[36:37], off
.LBB5_29:
	s_or_b32 exec_lo, exec_lo, s16
	s_load_dwordx2 s[16:17], s[4:5], 0x0
	v_add_nc_u32_e32 v38, 0xf00, v0
	v_cmp_gt_i32_e64 s4, s20, v38
                                        ; implicit-def: $vgpr39
	s_and_saveexec_b32 s5, s4
	s_cbranch_execz .LBB5_31
; %bb.30:
	v_add_co_u32 v38, vcc_lo, 0x7800, v40
	v_add_co_ci_u32_e64 v39, null, 0, v41, vcc_lo
	global_load_dwordx2 v[38:39], v[38:39], off
.LBB5_31:
	s_or_b32 exec_lo, exec_lo, s5
	s_waitcnt lgkmcnt(0)
	s_load_dwordx2 s[24:25], s[18:19], 0x12b8
	v_mov_b32_e32 v55, 0
	s_mov_b64 s[20:21], 0
	v_mov_b32_e32 v54, v55
	v_mov_b32_e32 v53, v55
	;; [unrolled: 1-line block ×15, first 2 shown]
	s_waitcnt lgkmcnt(0)
	s_mov_b32 s22, s24
.LBB5_32:                               ; =>This Inner Loop Header: Depth=1
	s_add_u32 s26, s18, s20
	s_addc_u32 s27, s19, s21
	s_mov_b32 s5, s22
	s_load_dwordx2 s[22:23], s[26:27], 0x0
	s_waitcnt lgkmcnt(0)
	v_sub_f32_e64 v56, s5, s22
	v_sub_f32_e64 v57, s25, s23
	s_waitcnt vmcnt(0)
	v_cmp_ngt_f32_e64 s5, s25, v3
	v_div_scale_f32 v58, null, v57, v57, v56
	v_div_scale_f32 v61, vcc_lo, v56, v57, v56
	v_rcp_f32_e32 v59, v58
	v_fma_f32 v60, -v58, v59, 1.0
	v_fmac_f32_e32 v59, v60, v59
	v_mul_f32_e32 v60, v61, v59
	v_fma_f32 v62, -v58, v60, v61
	v_fmac_f32_e32 v60, v62, v59
	v_fma_f32 v58, -v58, v60, v61
	v_div_fmas_f32 v58, v58, v59, v60
	v_cmp_gt_f32_e32 vcc_lo, s23, v3
	v_div_fixup_f32 v56, v58, v57, v56
	s_xor_b32 s5, vcc_lo, s5
	s_xor_b32 s24, s5, -1
	s_and_saveexec_b32 s5, s24
	s_cbranch_execz .LBB5_36
; %bb.33:                               ;   in Loop: Header=BB5_32 Depth=1
	v_subrev_f32_e32 v57, s23, v3
	s_mov_b32 s24, exec_lo
	v_fma_f32 v57, v56, v57, s22
	v_cmpx_lt_f32_e32 v2, v57
; %bb.34:                               ;   in Loop: Header=BB5_32 Depth=1
	v_cmp_eq_u32_e32 vcc_lo, 0, v55
	v_cndmask_b32_e64 v55, 0, 1, vcc_lo
; %bb.35:                               ;   in Loop: Header=BB5_32 Depth=1
	s_or_b32 exec_lo, exec_lo, s24
.LBB5_36:                               ;   in Loop: Header=BB5_32 Depth=1
	s_or_b32 exec_lo, exec_lo, s5
	v_cmp_gt_f32_e32 vcc_lo, s23, v5
	v_cmp_ngt_f32_e64 s5, s25, v5
	s_xor_b32 s5, vcc_lo, s5
	s_xor_b32 s24, s5, -1
	s_and_saveexec_b32 s5, s24
	s_cbranch_execz .LBB5_40
; %bb.37:                               ;   in Loop: Header=BB5_32 Depth=1
	v_subrev_f32_e32 v57, s23, v5
	s_mov_b32 s24, exec_lo
	v_fma_f32 v57, v56, v57, s22
	v_cmpx_lt_f32_e32 v4, v57
; %bb.38:                               ;   in Loop: Header=BB5_32 Depth=1
	v_cmp_eq_u32_e32 vcc_lo, 0, v54
	v_cndmask_b32_e64 v54, 0, 1, vcc_lo
; %bb.39:                               ;   in Loop: Header=BB5_32 Depth=1
	s_or_b32 exec_lo, exec_lo, s24
.LBB5_40:                               ;   in Loop: Header=BB5_32 Depth=1
	s_or_b32 exec_lo, exec_lo, s5
	v_cmp_gt_f32_e32 vcc_lo, s23, v9
	v_cmp_ngt_f32_e64 s5, s25, v9
	;; [unrolled: 18-line block ×15, first 2 shown]
	s_xor_b32 s5, vcc_lo, s5
	s_xor_b32 s24, s5, -1
	s_and_saveexec_b32 s5, s24
	s_cbranch_execz .LBB5_96
; %bb.93:                               ;   in Loop: Header=BB5_32 Depth=1
	v_subrev_f32_e32 v57, s23, v39
	s_mov_b32 s24, exec_lo
	v_fma_f32 v56, v56, v57, s22
	v_cmpx_lt_f32_e32 v38, v56
; %bb.94:                               ;   in Loop: Header=BB5_32 Depth=1
	v_cmp_eq_u32_e32 vcc_lo, 0, v40
	v_cndmask_b32_e64 v40, 0, 1, vcc_lo
; %bb.95:                               ;   in Loop: Header=BB5_32 Depth=1
	s_or_b32 exec_lo, exec_lo, s24
.LBB5_96:                               ;   in Loop: Header=BB5_32 Depth=1
	s_or_b32 exec_lo, exec_lo, s5
	s_add_u32 s20, s20, 8
	s_addc_u32 s21, s21, 0
	s_cmpk_lg_i32 s20, 0x12c0
	s_cbranch_scc0 .LBB5_98
; %bb.97:                               ;   in Loop: Header=BB5_32 Depth=1
	s_mov_b32 s25, s23
	s_branch .LBB5_32
.LBB5_98:
	v_lshlrev_b64 v[0:1], 2, v[0:1]
	v_add_co_u32 v0, vcc_lo, s16, v0
	v_add_co_ci_u32_e64 v1, null, s17, v1, vcc_lo
	global_store_dword v[0:1], v55, off
	s_and_saveexec_b32 s5, s0
	s_cbranch_execnz .LBB5_115
; %bb.99:
	s_or_b32 exec_lo, exec_lo, s5
	s_and_saveexec_b32 s0, s1
	s_cbranch_execnz .LBB5_116
.LBB5_100:
	s_or_b32 exec_lo, exec_lo, s0
	s_and_saveexec_b32 s0, s2
	s_cbranch_execnz .LBB5_117
.LBB5_101:
	s_or_b32 exec_lo, exec_lo, s0
	s_and_saveexec_b32 s0, s3
	s_cbranch_execnz .LBB5_118
.LBB5_102:
	s_or_b32 exec_lo, exec_lo, s0
	s_and_saveexec_b32 s0, s6
	s_cbranch_execnz .LBB5_119
.LBB5_103:
	s_or_b32 exec_lo, exec_lo, s0
	s_and_saveexec_b32 s0, s7
	s_cbranch_execnz .LBB5_120
.LBB5_104:
	s_or_b32 exec_lo, exec_lo, s0
	s_and_saveexec_b32 s0, s8
	s_cbranch_execnz .LBB5_121
.LBB5_105:
	s_or_b32 exec_lo, exec_lo, s0
	s_and_saveexec_b32 s0, s9
	s_cbranch_execnz .LBB5_122
.LBB5_106:
	s_or_b32 exec_lo, exec_lo, s0
	s_and_saveexec_b32 s0, s10
	s_cbranch_execnz .LBB5_123
.LBB5_107:
	s_or_b32 exec_lo, exec_lo, s0
	s_and_saveexec_b32 s0, s11
	s_cbranch_execnz .LBB5_124
.LBB5_108:
	s_or_b32 exec_lo, exec_lo, s0
	s_and_saveexec_b32 s0, s12
	s_cbranch_execnz .LBB5_125
.LBB5_109:
	s_or_b32 exec_lo, exec_lo, s0
	s_and_saveexec_b32 s0, s13
	s_cbranch_execnz .LBB5_126
.LBB5_110:
	s_or_b32 exec_lo, exec_lo, s0
	s_and_saveexec_b32 s0, s14
	s_cbranch_execnz .LBB5_127
.LBB5_111:
	s_or_b32 exec_lo, exec_lo, s0
	s_and_saveexec_b32 s0, s15
	s_cbranch_execnz .LBB5_128
.LBB5_112:
	s_or_b32 exec_lo, exec_lo, s0
	s_and_b32 exec_lo, exec_lo, s4
	s_cbranch_execz .LBB5_114
.LBB5_113:
	v_add_co_u32 v0, vcc_lo, 0x3800, v0
	v_add_co_ci_u32_e64 v1, null, 0, v1, vcc_lo
	global_store_dword v[0:1], v40, off offset:1024
.LBB5_114:
	s_endpgm
.LBB5_115:
	global_store_dword v[0:1], v54, off offset:1024
	s_or_b32 exec_lo, exec_lo, s5
	s_and_saveexec_b32 s0, s1
	s_cbranch_execz .LBB5_100
.LBB5_116:
	v_add_co_u32 v2, vcc_lo, 0x800, v0
	v_add_co_ci_u32_e64 v3, null, 0, v1, vcc_lo
	global_store_dword v[2:3], v53, off
	s_or_b32 exec_lo, exec_lo, s0
	s_and_saveexec_b32 s0, s2
	s_cbranch_execz .LBB5_101
.LBB5_117:
	v_add_co_u32 v2, vcc_lo, 0x800, v0
	v_add_co_ci_u32_e64 v3, null, 0, v1, vcc_lo
	global_store_dword v[2:3], v52, off offset:1024
	s_or_b32 exec_lo, exec_lo, s0
	s_and_saveexec_b32 s0, s3
	s_cbranch_execz .LBB5_102
.LBB5_118:
	v_lshlrev_b64 v[2:3], 2, v[6:7]
	v_add_co_u32 v2, vcc_lo, s16, v2
	v_add_co_ci_u32_e64 v3, null, s17, v3, vcc_lo
	global_store_dword v[2:3], v51, off
	s_or_b32 exec_lo, exec_lo, s0
	s_and_saveexec_b32 s0, s6
	s_cbranch_execz .LBB5_103
.LBB5_119:
	v_add_co_u32 v2, vcc_lo, 0x1000, v0
	v_add_co_ci_u32_e64 v3, null, 0, v1, vcc_lo
	global_store_dword v[2:3], v50, off offset:1024
	s_or_b32 exec_lo, exec_lo, s0
	s_and_saveexec_b32 s0, s7
	s_cbranch_execz .LBB5_104
.LBB5_120:
	v_add_co_u32 v2, vcc_lo, 0x1800, v0
	v_add_co_ci_u32_e64 v3, null, 0, v1, vcc_lo
	global_store_dword v[2:3], v49, off
	s_or_b32 exec_lo, exec_lo, s0
	s_and_saveexec_b32 s0, s8
	s_cbranch_execz .LBB5_105
.LBB5_121:
	v_add_co_u32 v2, vcc_lo, 0x1800, v0
	v_add_co_ci_u32_e64 v3, null, 0, v1, vcc_lo
	global_store_dword v[2:3], v48, off offset:1024
	s_or_b32 exec_lo, exec_lo, s0
	s_and_saveexec_b32 s0, s9
	s_cbranch_execz .LBB5_106
.LBB5_122:
	v_lshlrev_b64 v[2:3], 2, v[12:13]
	v_add_co_u32 v2, vcc_lo, s16, v2
	v_add_co_ci_u32_e64 v3, null, s17, v3, vcc_lo
	global_store_dword v[2:3], v47, off
	s_or_b32 exec_lo, exec_lo, s0
	s_and_saveexec_b32 s0, s10
	s_cbranch_execz .LBB5_107
.LBB5_123:
	v_add_co_u32 v2, vcc_lo, 0x2000, v0
	v_add_co_ci_u32_e64 v3, null, 0, v1, vcc_lo
	global_store_dword v[2:3], v46, off offset:1024
	s_or_b32 exec_lo, exec_lo, s0
	s_and_saveexec_b32 s0, s11
	s_cbranch_execz .LBB5_108
.LBB5_124:
	v_add_co_u32 v2, vcc_lo, 0x2800, v0
	v_add_co_ci_u32_e64 v3, null, 0, v1, vcc_lo
	global_store_dword v[2:3], v45, off
	s_or_b32 exec_lo, exec_lo, s0
	s_and_saveexec_b32 s0, s12
	s_cbranch_execz .LBB5_109
.LBB5_125:
	v_add_co_u32 v2, vcc_lo, 0x2800, v0
	v_add_co_ci_u32_e64 v3, null, 0, v1, vcc_lo
	global_store_dword v[2:3], v44, off offset:1024
	s_or_b32 exec_lo, exec_lo, s0
	s_and_saveexec_b32 s0, s13
	s_cbranch_execz .LBB5_110
.LBB5_126:
	v_lshlrev_b64 v[2:3], 2, v[16:17]
	v_add_co_u32 v2, vcc_lo, s16, v2
	v_add_co_ci_u32_e64 v3, null, s17, v3, vcc_lo
	global_store_dword v[2:3], v43, off
	s_or_b32 exec_lo, exec_lo, s0
	s_and_saveexec_b32 s0, s14
	s_cbranch_execz .LBB5_111
.LBB5_127:
	v_add_co_u32 v2, vcc_lo, 0x3000, v0
	v_add_co_ci_u32_e64 v3, null, 0, v1, vcc_lo
	global_store_dword v[2:3], v42, off offset:1024
	s_or_b32 exec_lo, exec_lo, s0
	s_and_saveexec_b32 s0, s15
	s_cbranch_execz .LBB5_112
.LBB5_128:
	v_add_co_u32 v2, vcc_lo, 0x3800, v0
	v_add_co_ci_u32_e64 v3, null, 0, v1, vcc_lo
	global_store_dword v[2:3], v41, off
	s_or_b32 exec_lo, exec_lo, s0
	s_and_b32 exec_lo, exec_lo, s4
	s_cbranch_execnz .LBB5_113
	s_branch .LBB5_114
	.section	.rodata,"a",@progbits
	.p2align	6, 0x0
	.amdhsa_kernel _Z10pnpoly_optILi16EEvPiPK15HIP_vector_typeIfLj2EES4_i
		.amdhsa_group_segment_fixed_size 0
		.amdhsa_private_segment_fixed_size 0
		.amdhsa_kernarg_size 28
		.amdhsa_user_sgpr_count 6
		.amdhsa_user_sgpr_private_segment_buffer 1
		.amdhsa_user_sgpr_dispatch_ptr 0
		.amdhsa_user_sgpr_queue_ptr 0
		.amdhsa_user_sgpr_kernarg_segment_ptr 1
		.amdhsa_user_sgpr_dispatch_id 0
		.amdhsa_user_sgpr_flat_scratch_init 0
		.amdhsa_user_sgpr_private_segment_size 0
		.amdhsa_wavefront_size32 1
		.amdhsa_uses_dynamic_stack 0
		.amdhsa_system_sgpr_private_segment_wavefront_offset 0
		.amdhsa_system_sgpr_workgroup_id_x 1
		.amdhsa_system_sgpr_workgroup_id_y 0
		.amdhsa_system_sgpr_workgroup_id_z 0
		.amdhsa_system_sgpr_workgroup_info 0
		.amdhsa_system_vgpr_workitem_id 0
		.amdhsa_next_free_vgpr 63
		.amdhsa_next_free_sgpr 28
		.amdhsa_reserve_vcc 1
		.amdhsa_reserve_flat_scratch 0
		.amdhsa_float_round_mode_32 0
		.amdhsa_float_round_mode_16_64 0
		.amdhsa_float_denorm_mode_32 3
		.amdhsa_float_denorm_mode_16_64 3
		.amdhsa_dx10_clamp 1
		.amdhsa_ieee_mode 1
		.amdhsa_fp16_overflow 0
		.amdhsa_workgroup_processor_mode 1
		.amdhsa_memory_ordered 1
		.amdhsa_forward_progress 1
		.amdhsa_shared_vgpr_count 0
		.amdhsa_exception_fp_ieee_invalid_op 0
		.amdhsa_exception_fp_denorm_src 0
		.amdhsa_exception_fp_ieee_div_zero 0
		.amdhsa_exception_fp_ieee_overflow 0
		.amdhsa_exception_fp_ieee_underflow 0
		.amdhsa_exception_fp_ieee_inexact 0
		.amdhsa_exception_int_div_zero 0
	.end_amdhsa_kernel
	.section	.text._Z10pnpoly_optILi16EEvPiPK15HIP_vector_typeIfLj2EES4_i,"axG",@progbits,_Z10pnpoly_optILi16EEvPiPK15HIP_vector_typeIfLj2EES4_i,comdat
.Lfunc_end5:
	.size	_Z10pnpoly_optILi16EEvPiPK15HIP_vector_typeIfLj2EES4_i, .Lfunc_end5-_Z10pnpoly_optILi16EEvPiPK15HIP_vector_typeIfLj2EES4_i
                                        ; -- End function
	.set _Z10pnpoly_optILi16EEvPiPK15HIP_vector_typeIfLj2EES4_i.num_vgpr, 63
	.set _Z10pnpoly_optILi16EEvPiPK15HIP_vector_typeIfLj2EES4_i.num_agpr, 0
	.set _Z10pnpoly_optILi16EEvPiPK15HIP_vector_typeIfLj2EES4_i.numbered_sgpr, 28
	.set _Z10pnpoly_optILi16EEvPiPK15HIP_vector_typeIfLj2EES4_i.num_named_barrier, 0
	.set _Z10pnpoly_optILi16EEvPiPK15HIP_vector_typeIfLj2EES4_i.private_seg_size, 0
	.set _Z10pnpoly_optILi16EEvPiPK15HIP_vector_typeIfLj2EES4_i.uses_vcc, 1
	.set _Z10pnpoly_optILi16EEvPiPK15HIP_vector_typeIfLj2EES4_i.uses_flat_scratch, 0
	.set _Z10pnpoly_optILi16EEvPiPK15HIP_vector_typeIfLj2EES4_i.has_dyn_sized_stack, 0
	.set _Z10pnpoly_optILi16EEvPiPK15HIP_vector_typeIfLj2EES4_i.has_recursion, 0
	.set _Z10pnpoly_optILi16EEvPiPK15HIP_vector_typeIfLj2EES4_i.has_indirect_call, 0
	.section	.AMDGPU.csdata,"",@progbits
; Kernel info:
; codeLenInByte = 3076
; TotalNumSgprs: 30
; NumVgprs: 63
; ScratchSize: 0
; MemoryBound: 0
; FloatMode: 240
; IeeeMode: 1
; LDSByteSize: 0 bytes/workgroup (compile time only)
; SGPRBlocks: 0
; VGPRBlocks: 7
; NumSGPRsForWavesPerEU: 30
; NumVGPRsForWavesPerEU: 63
; Occupancy: 16
; WaveLimiterHint : 0
; COMPUTE_PGM_RSRC2:SCRATCH_EN: 0
; COMPUTE_PGM_RSRC2:USER_SGPR: 6
; COMPUTE_PGM_RSRC2:TRAP_HANDLER: 0
; COMPUTE_PGM_RSRC2:TGID_X_EN: 1
; COMPUTE_PGM_RSRC2:TGID_Y_EN: 0
; COMPUTE_PGM_RSRC2:TGID_Z_EN: 0
; COMPUTE_PGM_RSRC2:TIDIG_COMP_CNT: 0
	.section	.text._Z10pnpoly_optILi32EEvPiPK15HIP_vector_typeIfLj2EES4_i,"axG",@progbits,_Z10pnpoly_optILi32EEvPiPK15HIP_vector_typeIfLj2EES4_i,comdat
	.protected	_Z10pnpoly_optILi32EEvPiPK15HIP_vector_typeIfLj2EES4_i ; -- Begin function _Z10pnpoly_optILi32EEvPiPK15HIP_vector_typeIfLj2EES4_i
	.globl	_Z10pnpoly_optILi32EEvPiPK15HIP_vector_typeIfLj2EES4_i
	.p2align	8
	.type	_Z10pnpoly_optILi32EEvPiPK15HIP_vector_typeIfLj2EES4_i,@function
_Z10pnpoly_optILi32EEvPiPK15HIP_vector_typeIfLj2EES4_i: ; @_Z10pnpoly_optILi32EEvPiPK15HIP_vector_typeIfLj2EES4_i
; %bb.0:
	s_load_dword s33, s[4:5], 0x18
	v_lshl_or_b32 v0, s6, 13, v0
	s_mov_b32 s0, exec_lo
	s_waitcnt lgkmcnt(0)
	v_cmpx_gt_i32_e64 s33, v0
	s_cbranch_execz .LBB6_226
; %bb.1:
	s_load_dwordx2 s[30:31], s[4:5], 0x8
	v_ashrrev_i32_e32 v1, 31, v0
	v_add_nc_u32_e32 v4, 0x100, v0
	v_lshlrev_b64 v[2:3], 3, v[0:1]
	v_cmp_gt_i32_e64 s0, s33, v4
                                        ; implicit-def: $vgpr5
	s_waitcnt lgkmcnt(0)
	v_add_co_u32 v80, vcc_lo, s30, v2
	v_add_co_ci_u32_e64 v81, null, s31, v3, vcc_lo
	global_load_dwordx2 v[2:3], v[80:81], off
	s_and_saveexec_b32 s1, s0
	s_cbranch_execz .LBB6_3
; %bb.2:
	v_add_co_u32 v4, vcc_lo, 0x800, v80
	v_add_co_ci_u32_e64 v5, null, 0, v81, vcc_lo
	global_load_dwordx2 v[4:5], v[4:5], off
.LBB6_3:
	s_or_b32 exec_lo, exec_lo, s1
	v_add_nc_u32_e32 v6, 0x200, v0
                                        ; implicit-def: $vgpr9
	v_cmp_gt_i32_e64 s1, s33, v6
	s_and_saveexec_b32 s2, s1
	s_cbranch_execz .LBB6_5
; %bb.4:
	v_add_co_u32 v6, vcc_lo, 0x1000, v80
	v_add_co_ci_u32_e64 v7, null, 0, v81, vcc_lo
	global_load_dwordx2 v[8:9], v[6:7], off
.LBB6_5:
	s_or_b32 exec_lo, exec_lo, s2
	v_add_nc_u32_e32 v6, 0x300, v0
                                        ; implicit-def: $vgpr11
	v_cmp_gt_i32_e64 s2, s33, v6
	s_and_saveexec_b32 s3, s2
	s_cbranch_execz .LBB6_7
; %bb.6:
	v_add_co_u32 v6, vcc_lo, 0x1800, v80
	v_add_co_ci_u32_e64 v7, null, 0, v81, vcc_lo
	global_load_dwordx2 v[10:11], v[6:7], off
.LBB6_7:
	s_or_b32 exec_lo, exec_lo, s3
	v_or_b32_e32 v6, 0x400, v0
                                        ; implicit-def: $vgpr15
	v_cmp_gt_i32_e64 s3, s33, v6
	v_ashrrev_i32_e32 v7, 31, v6
	s_and_saveexec_b32 s6, s3
	s_cbranch_execz .LBB6_9
; %bb.8:
	v_lshlrev_b64 v[12:13], 3, v[6:7]
	v_add_co_u32 v12, vcc_lo, s30, v12
	v_add_co_ci_u32_e64 v13, null, s31, v13, vcc_lo
	global_load_dwordx2 v[14:15], v[12:13], off
.LBB6_9:
	s_or_b32 exec_lo, exec_lo, s6
	v_add_nc_u32_e32 v12, 0x500, v0
                                        ; implicit-def: $vgpr19
	v_cmp_gt_i32_e64 s6, s33, v12
	s_and_saveexec_b32 s7, s6
	s_cbranch_execz .LBB6_11
; %bb.10:
	v_add_co_u32 v12, vcc_lo, 0x2800, v80
	v_add_co_ci_u32_e64 v13, null, 0, v81, vcc_lo
	global_load_dwordx2 v[18:19], v[12:13], off
.LBB6_11:
	s_or_b32 exec_lo, exec_lo, s7
	v_add_nc_u32_e32 v12, 0x600, v0
                                        ; implicit-def: $vgpr21
	v_cmp_gt_i32_e64 s7, s33, v12
	s_and_saveexec_b32 s8, s7
	s_cbranch_execz .LBB6_13
; %bb.12:
	v_add_co_u32 v12, vcc_lo, 0x3000, v80
	v_add_co_ci_u32_e64 v13, null, 0, v81, vcc_lo
	global_load_dwordx2 v[20:21], v[12:13], off
.LBB6_13:
	s_or_b32 exec_lo, exec_lo, s8
	v_add_nc_u32_e32 v12, 0x700, v0
                                        ; implicit-def: $vgpr25
	v_cmp_gt_i32_e64 s8, s33, v12
	s_and_saveexec_b32 s9, s8
	s_cbranch_execz .LBB6_15
; %bb.14:
	v_add_co_u32 v12, vcc_lo, 0x3800, v80
	v_add_co_ci_u32_e64 v13, null, 0, v81, vcc_lo
	global_load_dwordx2 v[24:25], v[12:13], off
.LBB6_15:
	s_or_b32 exec_lo, exec_lo, s9
	v_or_b32_e32 v12, 0x800, v0
                                        ; implicit-def: $vgpr27
	v_cmp_gt_i32_e64 s9, s33, v12
	v_ashrrev_i32_e32 v13, 31, v12
	s_and_saveexec_b32 s10, s9
	s_cbranch_execz .LBB6_17
; %bb.16:
	v_lshlrev_b64 v[16:17], 3, v[12:13]
	v_add_co_u32 v16, vcc_lo, s30, v16
	v_add_co_ci_u32_e64 v17, null, s31, v17, vcc_lo
	global_load_dwordx2 v[26:27], v[16:17], off
.LBB6_17:
	s_or_b32 exec_lo, exec_lo, s10
	v_add_nc_u32_e32 v16, 0x900, v0
                                        ; implicit-def: $vgpr31
	v_cmp_gt_i32_e64 s10, s33, v16
	s_and_saveexec_b32 s11, s10
	s_cbranch_execz .LBB6_19
; %bb.18:
	v_add_co_u32 v16, vcc_lo, 0x4800, v80
	v_add_co_ci_u32_e64 v17, null, 0, v81, vcc_lo
	global_load_dwordx2 v[30:31], v[16:17], off
.LBB6_19:
	s_or_b32 exec_lo, exec_lo, s11
	v_add_nc_u32_e32 v16, 0xa00, v0
                                        ; implicit-def: $vgpr33
	v_cmp_gt_i32_e64 s11, s33, v16
	s_and_saveexec_b32 s12, s11
	s_cbranch_execz .LBB6_21
; %bb.20:
	v_add_co_u32 v16, vcc_lo, 0x5000, v80
	v_add_co_ci_u32_e64 v17, null, 0, v81, vcc_lo
	global_load_dwordx2 v[32:33], v[16:17], off
.LBB6_21:
	s_or_b32 exec_lo, exec_lo, s12
	v_add_nc_u32_e32 v16, 0xb00, v0
                                        ; implicit-def: $vgpr37
	v_cmp_gt_i32_e64 s12, s33, v16
	s_and_saveexec_b32 s13, s12
	s_cbranch_execz .LBB6_23
; %bb.22:
	v_add_co_u32 v16, vcc_lo, 0x5800, v80
	v_add_co_ci_u32_e64 v17, null, 0, v81, vcc_lo
	global_load_dwordx2 v[36:37], v[16:17], off
.LBB6_23:
	s_or_b32 exec_lo, exec_lo, s13
	v_or_b32_e32 v16, 0xc00, v0
                                        ; implicit-def: $vgpr41
	v_cmp_gt_i32_e64 s13, s33, v16
	v_ashrrev_i32_e32 v17, 31, v16
	s_and_saveexec_b32 s14, s13
	s_cbranch_execz .LBB6_25
; %bb.24:
	v_lshlrev_b64 v[22:23], 3, v[16:17]
	v_add_co_u32 v22, vcc_lo, s30, v22
	v_add_co_ci_u32_e64 v23, null, s31, v23, vcc_lo
	global_load_dwordx2 v[40:41], v[22:23], off
.LBB6_25:
	s_or_b32 exec_lo, exec_lo, s14
	v_add_nc_u32_e32 v22, 0xd00, v0
                                        ; implicit-def: $vgpr43
	v_cmp_gt_i32_e64 s14, s33, v22
	s_and_saveexec_b32 s15, s14
	s_cbranch_execz .LBB6_27
; %bb.26:
	v_add_co_u32 v22, vcc_lo, 0x6800, v80
	v_add_co_ci_u32_e64 v23, null, 0, v81, vcc_lo
	global_load_dwordx2 v[42:43], v[22:23], off
.LBB6_27:
	s_or_b32 exec_lo, exec_lo, s15
	v_add_nc_u32_e32 v22, 0xe00, v0
                                        ; implicit-def: $vgpr45
	v_cmp_gt_i32_e64 s15, s33, v22
	s_and_saveexec_b32 s16, s15
	s_cbranch_execz .LBB6_29
; %bb.28:
	v_add_co_u32 v22, vcc_lo, 0x7000, v80
	v_add_co_ci_u32_e64 v23, null, 0, v81, vcc_lo
	global_load_dwordx2 v[44:45], v[22:23], off
.LBB6_29:
	s_or_b32 exec_lo, exec_lo, s16
	v_add_nc_u32_e32 v22, 0xf00, v0
                                        ; implicit-def: $vgpr47
	v_cmp_gt_i32_e64 s16, s33, v22
	s_and_saveexec_b32 s17, s16
	s_cbranch_execz .LBB6_31
; %bb.30:
	v_add_co_u32 v22, vcc_lo, 0x7800, v80
	v_add_co_ci_u32_e64 v23, null, 0, v81, vcc_lo
	global_load_dwordx2 v[46:47], v[22:23], off
.LBB6_31:
	s_or_b32 exec_lo, exec_lo, s17
	v_or_b32_e32 v22, 0x1000, v0
                                        ; implicit-def: $vgpr49
	v_cmp_gt_i32_e64 s17, s33, v22
	v_ashrrev_i32_e32 v23, 31, v22
	s_and_saveexec_b32 s18, s17
	s_cbranch_execz .LBB6_33
; %bb.32:
	v_lshlrev_b64 v[28:29], 3, v[22:23]
	v_add_co_u32 v28, vcc_lo, s30, v28
	v_add_co_ci_u32_e64 v29, null, s31, v29, vcc_lo
	global_load_dwordx2 v[48:49], v[28:29], off
.LBB6_33:
	s_or_b32 exec_lo, exec_lo, s18
	v_add_nc_u32_e32 v28, 0x1100, v0
                                        ; implicit-def: $vgpr51
	v_cmp_gt_i32_e64 s18, s33, v28
	s_and_saveexec_b32 s19, s18
	s_cbranch_execz .LBB6_35
; %bb.34:
	v_add_co_u32 v28, vcc_lo, 0x8800, v80
	v_add_co_ci_u32_e64 v29, null, 0, v81, vcc_lo
	global_load_dwordx2 v[50:51], v[28:29], off
.LBB6_35:
	s_or_b32 exec_lo, exec_lo, s19
	v_add_nc_u32_e32 v28, 0x1200, v0
                                        ; implicit-def: $vgpr53
	v_cmp_gt_i32_e64 s19, s33, v28
	s_and_saveexec_b32 s20, s19
	s_cbranch_execz .LBB6_37
; %bb.36:
	v_add_co_u32 v28, vcc_lo, 0x9000, v80
	v_add_co_ci_u32_e64 v29, null, 0, v81, vcc_lo
	global_load_dwordx2 v[52:53], v[28:29], off
.LBB6_37:
	s_or_b32 exec_lo, exec_lo, s20
	v_add_nc_u32_e32 v28, 0x1300, v0
                                        ; implicit-def: $vgpr55
	v_cmp_gt_i32_e64 s20, s33, v28
	s_and_saveexec_b32 s21, s20
	s_cbranch_execz .LBB6_39
; %bb.38:
	v_add_co_u32 v28, vcc_lo, 0x9800, v80
	v_add_co_ci_u32_e64 v29, null, 0, v81, vcc_lo
	global_load_dwordx2 v[54:55], v[28:29], off
.LBB6_39:
	s_or_b32 exec_lo, exec_lo, s21
	v_or_b32_e32 v28, 0x1400, v0
                                        ; implicit-def: $vgpr57
	v_cmp_gt_i32_e64 s21, s33, v28
	v_ashrrev_i32_e32 v29, 31, v28
	s_and_saveexec_b32 s22, s21
	s_cbranch_execz .LBB6_41
; %bb.40:
	v_lshlrev_b64 v[34:35], 3, v[28:29]
	v_add_co_u32 v34, vcc_lo, s30, v34
	v_add_co_ci_u32_e64 v35, null, s31, v35, vcc_lo
	global_load_dwordx2 v[56:57], v[34:35], off
.LBB6_41:
	s_or_b32 exec_lo, exec_lo, s22
	v_add_nc_u32_e32 v34, 0x1500, v0
                                        ; implicit-def: $vgpr59
	v_cmp_gt_i32_e64 s22, s33, v34
	s_and_saveexec_b32 s23, s22
	s_cbranch_execz .LBB6_43
; %bb.42:
	v_add_co_u32 v34, vcc_lo, 0xa800, v80
	v_add_co_ci_u32_e64 v35, null, 0, v81, vcc_lo
	global_load_dwordx2 v[58:59], v[34:35], off
.LBB6_43:
	s_or_b32 exec_lo, exec_lo, s23
	v_add_nc_u32_e32 v34, 0x1600, v0
                                        ; implicit-def: $vgpr61
	v_cmp_gt_i32_e64 s23, s33, v34
	s_and_saveexec_b32 s24, s23
	s_cbranch_execz .LBB6_45
; %bb.44:
	v_add_co_u32 v34, vcc_lo, 0xb000, v80
	v_add_co_ci_u32_e64 v35, null, 0, v81, vcc_lo
	global_load_dwordx2 v[60:61], v[34:35], off
.LBB6_45:
	s_or_b32 exec_lo, exec_lo, s24
	v_add_nc_u32_e32 v34, 0x1700, v0
                                        ; implicit-def: $vgpr63
	v_cmp_gt_i32_e64 s24, s33, v34
	s_and_saveexec_b32 s25, s24
	s_cbranch_execz .LBB6_47
; %bb.46:
	v_add_co_u32 v34, vcc_lo, 0xb800, v80
	v_add_co_ci_u32_e64 v35, null, 0, v81, vcc_lo
	global_load_dwordx2 v[62:63], v[34:35], off
.LBB6_47:
	s_or_b32 exec_lo, exec_lo, s25
	v_or_b32_e32 v34, 0x1800, v0
                                        ; implicit-def: $vgpr65
	v_cmp_gt_i32_e64 s25, s33, v34
	v_ashrrev_i32_e32 v35, 31, v34
	s_and_saveexec_b32 s26, s25
	s_cbranch_execz .LBB6_49
; %bb.48:
	v_lshlrev_b64 v[38:39], 3, v[34:35]
	v_add_co_u32 v38, vcc_lo, s30, v38
	v_add_co_ci_u32_e64 v39, null, s31, v39, vcc_lo
	global_load_dwordx2 v[64:65], v[38:39], off
.LBB6_49:
	s_or_b32 exec_lo, exec_lo, s26
	v_add_nc_u32_e32 v38, 0x1900, v0
                                        ; implicit-def: $vgpr67
	v_cmp_gt_i32_e64 s26, s33, v38
	s_and_saveexec_b32 s27, s26
	s_cbranch_execz .LBB6_51
; %bb.50:
	v_add_co_u32 v38, vcc_lo, 0xc800, v80
	v_add_co_ci_u32_e64 v39, null, 0, v81, vcc_lo
	global_load_dwordx2 v[66:67], v[38:39], off
.LBB6_51:
	s_or_b32 exec_lo, exec_lo, s27
	v_add_nc_u32_e32 v38, 0x1a00, v0
                                        ; implicit-def: $vgpr69
	v_cmp_gt_i32_e64 s27, s33, v38
	s_and_saveexec_b32 s28, s27
	s_cbranch_execz .LBB6_53
; %bb.52:
	v_add_co_u32 v38, vcc_lo, 0xd000, v80
	v_add_co_ci_u32_e64 v39, null, 0, v81, vcc_lo
	global_load_dwordx2 v[68:69], v[38:39], off
.LBB6_53:
	s_or_b32 exec_lo, exec_lo, s28
	v_add_nc_u32_e32 v38, 0x1b00, v0
                                        ; implicit-def: $vgpr71
	v_cmp_gt_i32_e64 s28, s33, v38
	s_and_saveexec_b32 s29, s28
	s_cbranch_execz .LBB6_55
; %bb.54:
	v_add_co_u32 v38, vcc_lo, 0xd800, v80
	v_add_co_ci_u32_e64 v39, null, 0, v81, vcc_lo
	global_load_dwordx2 v[70:71], v[38:39], off
.LBB6_55:
	s_or_b32 exec_lo, exec_lo, s29
	v_or_b32_e32 v38, 0x1c00, v0
                                        ; implicit-def: $vgpr73
	v_cmp_gt_i32_e64 s29, s33, v38
	v_ashrrev_i32_e32 v39, 31, v38
	s_and_saveexec_b32 s34, s29
	s_cbranch_execz .LBB6_57
; %bb.56:
	v_lshlrev_b64 v[72:73], 3, v[38:39]
	v_add_co_u32 v72, vcc_lo, s30, v72
	v_add_co_ci_u32_e64 v73, null, s31, v73, vcc_lo
	global_load_dwordx2 v[72:73], v[72:73], off
.LBB6_57:
	s_or_b32 exec_lo, exec_lo, s34
	v_add_nc_u32_e32 v74, 0x1d00, v0
	v_cmp_gt_i32_e64 s30, s33, v74
                                        ; implicit-def: $vgpr75
	s_and_saveexec_b32 s31, s30
	s_cbranch_execz .LBB6_59
; %bb.58:
	v_add_co_u32 v74, vcc_lo, 0xe800, v80
	v_add_co_ci_u32_e64 v75, null, 0, v81, vcc_lo
	global_load_dwordx2 v[74:75], v[74:75], off
.LBB6_59:
	s_or_b32 exec_lo, exec_lo, s31
	s_load_dwordx2 s[36:37], s[4:5], 0x10
	v_add_nc_u32_e32 v76, 0x1e00, v0
	v_cmp_gt_i32_e64 s31, s33, v76
                                        ; implicit-def: $vgpr77
	s_and_saveexec_b32 s34, s31
	s_cbranch_execz .LBB6_61
; %bb.60:
	v_add_co_u32 v76, vcc_lo, 0xf000, v80
	v_add_co_ci_u32_e64 v77, null, 0, v81, vcc_lo
	global_load_dwordx2 v[76:77], v[76:77], off
.LBB6_61:
	s_or_b32 exec_lo, exec_lo, s34
	s_load_dwordx2 s[34:35], s[4:5], 0x0
	v_add_nc_u32_e32 v78, 0x1f00, v0
	v_cmp_gt_i32_e64 s4, s33, v78
                                        ; implicit-def: $vgpr79
	s_and_saveexec_b32 s5, s4
	s_cbranch_execz .LBB6_63
; %bb.62:
	v_add_co_u32 v78, vcc_lo, 0xf800, v80
	v_add_co_ci_u32_e64 v79, null, 0, v81, vcc_lo
	global_load_dwordx2 v[78:79], v[78:79], off
.LBB6_63:
	s_or_b32 exec_lo, exec_lo, s5
	s_waitcnt lgkmcnt(0)
	s_load_dwordx2 s[40:41], s[36:37], 0x12b8
	v_mov_b32_e32 v111, 0
	s_mov_b64 s[38:39], 0
	v_mov_b32_e32 v110, v111
	v_mov_b32_e32 v109, v111
	;; [unrolled: 1-line block ×31, first 2 shown]
	s_waitcnt lgkmcnt(0)
	s_mov_b32 s42, s40
.LBB6_64:                               ; =>This Inner Loop Header: Depth=1
	s_add_u32 s44, s36, s38
	s_addc_u32 s45, s37, s39
	s_mov_b32 s5, s42
	s_load_dwordx2 s[42:43], s[44:45], 0x0
	s_waitcnt lgkmcnt(0)
	v_sub_f32_e64 v112, s5, s42
	v_sub_f32_e64 v113, s41, s43
	s_waitcnt vmcnt(0)
	v_cmp_ngt_f32_e64 s5, s41, v3
	v_div_scale_f32 v114, null, v113, v113, v112
	v_div_scale_f32 v117, vcc_lo, v112, v113, v112
	v_rcp_f32_e32 v115, v114
	v_fma_f32 v116, -v114, v115, 1.0
	v_fmac_f32_e32 v115, v116, v115
	v_mul_f32_e32 v116, v117, v115
	v_fma_f32 v118, -v114, v116, v117
	v_fmac_f32_e32 v116, v118, v115
	v_fma_f32 v114, -v114, v116, v117
	v_div_fmas_f32 v114, v114, v115, v116
	v_cmp_gt_f32_e32 vcc_lo, s43, v3
	v_div_fixup_f32 v112, v114, v113, v112
	s_xor_b32 s5, vcc_lo, s5
	s_xor_b32 s33, s5, -1
	s_and_saveexec_b32 s5, s33
	s_cbranch_execz .LBB6_68
; %bb.65:                               ;   in Loop: Header=BB6_64 Depth=1
	v_subrev_f32_e32 v113, s43, v3
	s_mov_b32 s33, exec_lo
	v_fma_f32 v113, v112, v113, s42
	v_cmpx_lt_f32_e32 v2, v113
; %bb.66:                               ;   in Loop: Header=BB6_64 Depth=1
	v_cmp_eq_u32_e32 vcc_lo, 0, v111
	v_cndmask_b32_e64 v111, 0, 1, vcc_lo
; %bb.67:                               ;   in Loop: Header=BB6_64 Depth=1
	s_or_b32 exec_lo, exec_lo, s33
.LBB6_68:                               ;   in Loop: Header=BB6_64 Depth=1
	s_or_b32 exec_lo, exec_lo, s5
	v_cmp_gt_f32_e32 vcc_lo, s43, v5
	v_cmp_ngt_f32_e64 s5, s41, v5
	s_xor_b32 s5, vcc_lo, s5
	s_xor_b32 s33, s5, -1
	s_and_saveexec_b32 s5, s33
	s_cbranch_execz .LBB6_72
; %bb.69:                               ;   in Loop: Header=BB6_64 Depth=1
	v_subrev_f32_e32 v113, s43, v5
	s_mov_b32 s33, exec_lo
	v_fma_f32 v113, v112, v113, s42
	v_cmpx_lt_f32_e32 v4, v113
; %bb.70:                               ;   in Loop: Header=BB6_64 Depth=1
	v_cmp_eq_u32_e32 vcc_lo, 0, v110
	v_cndmask_b32_e64 v110, 0, 1, vcc_lo
; %bb.71:                               ;   in Loop: Header=BB6_64 Depth=1
	s_or_b32 exec_lo, exec_lo, s33
.LBB6_72:                               ;   in Loop: Header=BB6_64 Depth=1
	s_or_b32 exec_lo, exec_lo, s5
	v_cmp_gt_f32_e32 vcc_lo, s43, v9
	v_cmp_ngt_f32_e64 s5, s41, v9
	;; [unrolled: 18-line block ×8, first 2 shown]
	s_xor_b32 s5, vcc_lo, s5
	s_xor_b32 s33, s5, -1
	s_and_saveexec_b32 s5, s33
	s_cbranch_execz .LBB6_100
; %bb.97:                               ;   in Loop: Header=BB6_64 Depth=1
	v_subrev_f32_e32 v113, s43, v27
	s_mov_b32 s33, exec_lo
	v_fma_f32 v113, v112, v113, s42
	v_cmpx_lt_f32_e32 v26, v113
; %bb.98:                               ;   in Loop: Header=BB6_64 Depth=1
	v_cmp_eq_u32_e32 vcc_lo, 0, v103
	v_cndmask_b32_e64 v103, 0, 1, vcc_lo
; %bb.99:                               ;   in Loop: Header=BB6_64 Depth=1
	s_or_b32 exec_lo, exec_lo, s33
.LBB6_100:                              ;   in Loop: Header=BB6_64 Depth=1
	s_or_b32 exec_lo, exec_lo, s5
	v_cmp_gt_f32_e32 vcc_lo, s43, v31
	v_cmp_ngt_f32_e64 s5, s41, v31
	s_xor_b32 s5, vcc_lo, s5
	s_xor_b32 s33, s5, -1
	s_and_saveexec_b32 s5, s33
	s_cbranch_execz .LBB6_104
; %bb.101:                              ;   in Loop: Header=BB6_64 Depth=1
	v_subrev_f32_e32 v113, s43, v31
	s_mov_b32 s33, exec_lo
	v_fma_f32 v113, v112, v113, s42
	v_cmpx_lt_f32_e32 v30, v113
; %bb.102:                              ;   in Loop: Header=BB6_64 Depth=1
	v_cmp_eq_u32_e32 vcc_lo, 0, v102
	v_cndmask_b32_e64 v102, 0, 1, vcc_lo
; %bb.103:                              ;   in Loop: Header=BB6_64 Depth=1
	s_or_b32 exec_lo, exec_lo, s33
.LBB6_104:                              ;   in Loop: Header=BB6_64 Depth=1
	s_or_b32 exec_lo, exec_lo, s5
	v_cmp_gt_f32_e32 vcc_lo, s43, v33
	v_cmp_ngt_f32_e64 s5, s41, v33
	s_xor_b32 s5, vcc_lo, s5
	s_xor_b32 s33, s5, -1
	s_and_saveexec_b32 s5, s33
	s_cbranch_execz .LBB6_108
; %bb.105:                              ;   in Loop: Header=BB6_64 Depth=1
	v_subrev_f32_e32 v113, s43, v33
	s_mov_b32 s33, exec_lo
	v_fma_f32 v113, v112, v113, s42
	v_cmpx_lt_f32_e32 v32, v113
; %bb.106:                              ;   in Loop: Header=BB6_64 Depth=1
	v_cmp_eq_u32_e32 vcc_lo, 0, v101
	v_cndmask_b32_e64 v101, 0, 1, vcc_lo
; %bb.107:                              ;   in Loop: Header=BB6_64 Depth=1
	s_or_b32 exec_lo, exec_lo, s33
.LBB6_108:                              ;   in Loop: Header=BB6_64 Depth=1
	;; [unrolled: 18-line block ×23, first 2 shown]
	s_or_b32 exec_lo, exec_lo, s5
	s_add_u32 s38, s38, 8
	s_addc_u32 s39, s39, 0
	s_cmpk_lg_i32 s38, 0x12c0
	s_cbranch_scc0 .LBB6_194
; %bb.193:                              ;   in Loop: Header=BB6_64 Depth=1
	s_mov_b32 s41, s43
	s_branch .LBB6_64
.LBB6_194:
	v_lshlrev_b64 v[0:1], 2, v[0:1]
	v_add_co_u32 v0, vcc_lo, s34, v0
	v_add_co_ci_u32_e64 v1, null, s35, v1, vcc_lo
	global_store_dword v[0:1], v111, off
	s_and_saveexec_b32 s5, s0
	s_cbranch_execnz .LBB6_227
; %bb.195:
	s_or_b32 exec_lo, exec_lo, s5
	s_and_saveexec_b32 s0, s1
	s_cbranch_execnz .LBB6_228
.LBB6_196:
	s_or_b32 exec_lo, exec_lo, s0
	s_and_saveexec_b32 s0, s2
	s_cbranch_execnz .LBB6_229
.LBB6_197:
	s_or_b32 exec_lo, exec_lo, s0
	s_and_saveexec_b32 s0, s3
	s_cbranch_execnz .LBB6_230
.LBB6_198:
	s_or_b32 exec_lo, exec_lo, s0
	s_and_saveexec_b32 s0, s6
	s_cbranch_execnz .LBB6_231
.LBB6_199:
	s_or_b32 exec_lo, exec_lo, s0
	s_and_saveexec_b32 s0, s7
	s_cbranch_execnz .LBB6_232
.LBB6_200:
	s_or_b32 exec_lo, exec_lo, s0
	s_and_saveexec_b32 s0, s8
	s_cbranch_execnz .LBB6_233
.LBB6_201:
	s_or_b32 exec_lo, exec_lo, s0
	s_and_saveexec_b32 s0, s9
	s_cbranch_execnz .LBB6_234
.LBB6_202:
	s_or_b32 exec_lo, exec_lo, s0
	s_and_saveexec_b32 s0, s10
	s_cbranch_execnz .LBB6_235
.LBB6_203:
	s_or_b32 exec_lo, exec_lo, s0
	s_and_saveexec_b32 s0, s11
	s_cbranch_execnz .LBB6_236
.LBB6_204:
	s_or_b32 exec_lo, exec_lo, s0
	s_and_saveexec_b32 s0, s12
	s_cbranch_execnz .LBB6_237
.LBB6_205:
	s_or_b32 exec_lo, exec_lo, s0
	s_and_saveexec_b32 s0, s13
	s_cbranch_execnz .LBB6_238
.LBB6_206:
	s_or_b32 exec_lo, exec_lo, s0
	s_and_saveexec_b32 s0, s14
	s_cbranch_execnz .LBB6_239
.LBB6_207:
	s_or_b32 exec_lo, exec_lo, s0
	s_and_saveexec_b32 s0, s15
	s_cbranch_execnz .LBB6_240
.LBB6_208:
	s_or_b32 exec_lo, exec_lo, s0
	s_and_saveexec_b32 s0, s16
	s_cbranch_execnz .LBB6_241
.LBB6_209:
	s_or_b32 exec_lo, exec_lo, s0
	s_and_saveexec_b32 s0, s17
	s_cbranch_execnz .LBB6_242
.LBB6_210:
	s_or_b32 exec_lo, exec_lo, s0
	s_and_saveexec_b32 s0, s18
	s_cbranch_execnz .LBB6_243
.LBB6_211:
	s_or_b32 exec_lo, exec_lo, s0
	s_and_saveexec_b32 s0, s19
	s_cbranch_execnz .LBB6_244
.LBB6_212:
	s_or_b32 exec_lo, exec_lo, s0
	s_and_saveexec_b32 s0, s20
	s_cbranch_execnz .LBB6_245
.LBB6_213:
	s_or_b32 exec_lo, exec_lo, s0
	s_and_saveexec_b32 s0, s21
	s_cbranch_execnz .LBB6_246
.LBB6_214:
	s_or_b32 exec_lo, exec_lo, s0
	s_and_saveexec_b32 s0, s22
	s_cbranch_execnz .LBB6_247
.LBB6_215:
	s_or_b32 exec_lo, exec_lo, s0
	s_and_saveexec_b32 s0, s23
	s_cbranch_execnz .LBB6_248
.LBB6_216:
	s_or_b32 exec_lo, exec_lo, s0
	s_and_saveexec_b32 s0, s24
	s_cbranch_execnz .LBB6_249
.LBB6_217:
	s_or_b32 exec_lo, exec_lo, s0
	s_and_saveexec_b32 s0, s25
	s_cbranch_execnz .LBB6_250
.LBB6_218:
	s_or_b32 exec_lo, exec_lo, s0
	s_and_saveexec_b32 s0, s26
	s_cbranch_execnz .LBB6_251
.LBB6_219:
	s_or_b32 exec_lo, exec_lo, s0
	s_and_saveexec_b32 s0, s27
	s_cbranch_execnz .LBB6_252
.LBB6_220:
	s_or_b32 exec_lo, exec_lo, s0
	s_and_saveexec_b32 s0, s28
	s_cbranch_execnz .LBB6_253
.LBB6_221:
	s_or_b32 exec_lo, exec_lo, s0
	s_and_saveexec_b32 s0, s29
	s_cbranch_execnz .LBB6_254
.LBB6_222:
	s_or_b32 exec_lo, exec_lo, s0
	s_and_saveexec_b32 s0, s30
	s_cbranch_execnz .LBB6_255
.LBB6_223:
	s_or_b32 exec_lo, exec_lo, s0
	s_and_saveexec_b32 s0, s31
	s_cbranch_execnz .LBB6_256
.LBB6_224:
	s_or_b32 exec_lo, exec_lo, s0
	s_and_b32 exec_lo, exec_lo, s4
	s_cbranch_execz .LBB6_226
.LBB6_225:
	v_add_co_u32 v0, vcc_lo, 0x7800, v0
	v_add_co_ci_u32_e64 v1, null, 0, v1, vcc_lo
	global_store_dword v[0:1], v80, off offset:1024
.LBB6_226:
	s_endpgm
.LBB6_227:
	global_store_dword v[0:1], v110, off offset:1024
	s_or_b32 exec_lo, exec_lo, s5
	s_and_saveexec_b32 s0, s1
	s_cbranch_execz .LBB6_196
.LBB6_228:
	v_add_co_u32 v2, vcc_lo, 0x800, v0
	v_add_co_ci_u32_e64 v3, null, 0, v1, vcc_lo
	global_store_dword v[2:3], v109, off
	s_or_b32 exec_lo, exec_lo, s0
	s_and_saveexec_b32 s0, s2
	s_cbranch_execz .LBB6_197
.LBB6_229:
	v_add_co_u32 v2, vcc_lo, 0x800, v0
	v_add_co_ci_u32_e64 v3, null, 0, v1, vcc_lo
	global_store_dword v[2:3], v108, off offset:1024
	s_or_b32 exec_lo, exec_lo, s0
	s_and_saveexec_b32 s0, s3
	s_cbranch_execz .LBB6_198
.LBB6_230:
	v_lshlrev_b64 v[2:3], 2, v[6:7]
	v_add_co_u32 v2, vcc_lo, s34, v2
	v_add_co_ci_u32_e64 v3, null, s35, v3, vcc_lo
	global_store_dword v[2:3], v107, off
	s_or_b32 exec_lo, exec_lo, s0
	s_and_saveexec_b32 s0, s6
	s_cbranch_execz .LBB6_199
.LBB6_231:
	v_add_co_u32 v2, vcc_lo, 0x1000, v0
	v_add_co_ci_u32_e64 v3, null, 0, v1, vcc_lo
	global_store_dword v[2:3], v106, off offset:1024
	s_or_b32 exec_lo, exec_lo, s0
	s_and_saveexec_b32 s0, s7
	s_cbranch_execz .LBB6_200
.LBB6_232:
	v_add_co_u32 v2, vcc_lo, 0x1800, v0
	v_add_co_ci_u32_e64 v3, null, 0, v1, vcc_lo
	global_store_dword v[2:3], v105, off
	s_or_b32 exec_lo, exec_lo, s0
	s_and_saveexec_b32 s0, s8
	s_cbranch_execz .LBB6_201
.LBB6_233:
	v_add_co_u32 v2, vcc_lo, 0x1800, v0
	v_add_co_ci_u32_e64 v3, null, 0, v1, vcc_lo
	global_store_dword v[2:3], v104, off offset:1024
	s_or_b32 exec_lo, exec_lo, s0
	s_and_saveexec_b32 s0, s9
	s_cbranch_execz .LBB6_202
.LBB6_234:
	v_lshlrev_b64 v[2:3], 2, v[12:13]
	v_add_co_u32 v2, vcc_lo, s34, v2
	v_add_co_ci_u32_e64 v3, null, s35, v3, vcc_lo
	global_store_dword v[2:3], v103, off
	s_or_b32 exec_lo, exec_lo, s0
	s_and_saveexec_b32 s0, s10
	s_cbranch_execz .LBB6_203
.LBB6_235:
	v_add_co_u32 v2, vcc_lo, 0x2000, v0
	v_add_co_ci_u32_e64 v3, null, 0, v1, vcc_lo
	global_store_dword v[2:3], v102, off offset:1024
	s_or_b32 exec_lo, exec_lo, s0
	s_and_saveexec_b32 s0, s11
	s_cbranch_execz .LBB6_204
.LBB6_236:
	v_add_co_u32 v2, vcc_lo, 0x2800, v0
	v_add_co_ci_u32_e64 v3, null, 0, v1, vcc_lo
	global_store_dword v[2:3], v101, off
	s_or_b32 exec_lo, exec_lo, s0
	s_and_saveexec_b32 s0, s12
	s_cbranch_execz .LBB6_205
.LBB6_237:
	v_add_co_u32 v2, vcc_lo, 0x2800, v0
	v_add_co_ci_u32_e64 v3, null, 0, v1, vcc_lo
	global_store_dword v[2:3], v100, off offset:1024
	s_or_b32 exec_lo, exec_lo, s0
	s_and_saveexec_b32 s0, s13
	s_cbranch_execz .LBB6_206
.LBB6_238:
	v_lshlrev_b64 v[2:3], 2, v[16:17]
	v_add_co_u32 v2, vcc_lo, s34, v2
	v_add_co_ci_u32_e64 v3, null, s35, v3, vcc_lo
	global_store_dword v[2:3], v99, off
	s_or_b32 exec_lo, exec_lo, s0
	s_and_saveexec_b32 s0, s14
	s_cbranch_execz .LBB6_207
.LBB6_239:
	v_add_co_u32 v2, vcc_lo, 0x3000, v0
	v_add_co_ci_u32_e64 v3, null, 0, v1, vcc_lo
	global_store_dword v[2:3], v98, off offset:1024
	s_or_b32 exec_lo, exec_lo, s0
	s_and_saveexec_b32 s0, s15
	s_cbranch_execz .LBB6_208
.LBB6_240:
	v_add_co_u32 v2, vcc_lo, 0x3800, v0
	v_add_co_ci_u32_e64 v3, null, 0, v1, vcc_lo
	global_store_dword v[2:3], v97, off
	s_or_b32 exec_lo, exec_lo, s0
	s_and_saveexec_b32 s0, s16
	s_cbranch_execz .LBB6_209
.LBB6_241:
	v_add_co_u32 v2, vcc_lo, 0x3800, v0
	v_add_co_ci_u32_e64 v3, null, 0, v1, vcc_lo
	global_store_dword v[2:3], v96, off offset:1024
	s_or_b32 exec_lo, exec_lo, s0
	s_and_saveexec_b32 s0, s17
	s_cbranch_execz .LBB6_210
.LBB6_242:
	v_lshlrev_b64 v[2:3], 2, v[22:23]
	v_add_co_u32 v2, vcc_lo, s34, v2
	v_add_co_ci_u32_e64 v3, null, s35, v3, vcc_lo
	global_store_dword v[2:3], v95, off
	s_or_b32 exec_lo, exec_lo, s0
	s_and_saveexec_b32 s0, s18
	s_cbranch_execz .LBB6_211
.LBB6_243:
	v_add_co_u32 v2, vcc_lo, 0x4000, v0
	v_add_co_ci_u32_e64 v3, null, 0, v1, vcc_lo
	global_store_dword v[2:3], v94, off offset:1024
	s_or_b32 exec_lo, exec_lo, s0
	s_and_saveexec_b32 s0, s19
	s_cbranch_execz .LBB6_212
.LBB6_244:
	v_add_co_u32 v2, vcc_lo, 0x4800, v0
	v_add_co_ci_u32_e64 v3, null, 0, v1, vcc_lo
	global_store_dword v[2:3], v93, off
	s_or_b32 exec_lo, exec_lo, s0
	s_and_saveexec_b32 s0, s20
	s_cbranch_execz .LBB6_213
.LBB6_245:
	v_add_co_u32 v2, vcc_lo, 0x4800, v0
	v_add_co_ci_u32_e64 v3, null, 0, v1, vcc_lo
	global_store_dword v[2:3], v92, off offset:1024
	s_or_b32 exec_lo, exec_lo, s0
	s_and_saveexec_b32 s0, s21
	s_cbranch_execz .LBB6_214
.LBB6_246:
	v_lshlrev_b64 v[2:3], 2, v[28:29]
	v_add_co_u32 v2, vcc_lo, s34, v2
	v_add_co_ci_u32_e64 v3, null, s35, v3, vcc_lo
	global_store_dword v[2:3], v91, off
	s_or_b32 exec_lo, exec_lo, s0
	s_and_saveexec_b32 s0, s22
	s_cbranch_execz .LBB6_215
.LBB6_247:
	v_add_co_u32 v2, vcc_lo, 0x5000, v0
	v_add_co_ci_u32_e64 v3, null, 0, v1, vcc_lo
	global_store_dword v[2:3], v90, off offset:1024
	s_or_b32 exec_lo, exec_lo, s0
	s_and_saveexec_b32 s0, s23
	s_cbranch_execz .LBB6_216
.LBB6_248:
	v_add_co_u32 v2, vcc_lo, 0x5800, v0
	v_add_co_ci_u32_e64 v3, null, 0, v1, vcc_lo
	global_store_dword v[2:3], v89, off
	s_or_b32 exec_lo, exec_lo, s0
	s_and_saveexec_b32 s0, s24
	s_cbranch_execz .LBB6_217
.LBB6_249:
	v_add_co_u32 v2, vcc_lo, 0x5800, v0
	v_add_co_ci_u32_e64 v3, null, 0, v1, vcc_lo
	global_store_dword v[2:3], v88, off offset:1024
	s_or_b32 exec_lo, exec_lo, s0
	s_and_saveexec_b32 s0, s25
	s_cbranch_execz .LBB6_218
.LBB6_250:
	v_lshlrev_b64 v[2:3], 2, v[34:35]
	v_add_co_u32 v2, vcc_lo, s34, v2
	v_add_co_ci_u32_e64 v3, null, s35, v3, vcc_lo
	global_store_dword v[2:3], v87, off
	s_or_b32 exec_lo, exec_lo, s0
	s_and_saveexec_b32 s0, s26
	s_cbranch_execz .LBB6_219
.LBB6_251:
	v_add_co_u32 v2, vcc_lo, 0x6000, v0
	v_add_co_ci_u32_e64 v3, null, 0, v1, vcc_lo
	global_store_dword v[2:3], v86, off offset:1024
	s_or_b32 exec_lo, exec_lo, s0
	s_and_saveexec_b32 s0, s27
	s_cbranch_execz .LBB6_220
.LBB6_252:
	v_add_co_u32 v2, vcc_lo, 0x6800, v0
	v_add_co_ci_u32_e64 v3, null, 0, v1, vcc_lo
	global_store_dword v[2:3], v85, off
	s_or_b32 exec_lo, exec_lo, s0
	s_and_saveexec_b32 s0, s28
	s_cbranch_execz .LBB6_221
.LBB6_253:
	v_add_co_u32 v2, vcc_lo, 0x6800, v0
	v_add_co_ci_u32_e64 v3, null, 0, v1, vcc_lo
	global_store_dword v[2:3], v84, off offset:1024
	s_or_b32 exec_lo, exec_lo, s0
	s_and_saveexec_b32 s0, s29
	s_cbranch_execz .LBB6_222
.LBB6_254:
	v_lshlrev_b64 v[2:3], 2, v[38:39]
	v_add_co_u32 v2, vcc_lo, s34, v2
	v_add_co_ci_u32_e64 v3, null, s35, v3, vcc_lo
	global_store_dword v[2:3], v83, off
	s_or_b32 exec_lo, exec_lo, s0
	s_and_saveexec_b32 s0, s30
	s_cbranch_execz .LBB6_223
.LBB6_255:
	v_add_co_u32 v2, vcc_lo, 0x7000, v0
	v_add_co_ci_u32_e64 v3, null, 0, v1, vcc_lo
	global_store_dword v[2:3], v82, off offset:1024
	s_or_b32 exec_lo, exec_lo, s0
	s_and_saveexec_b32 s0, s31
	s_cbranch_execz .LBB6_224
.LBB6_256:
	v_add_co_u32 v2, vcc_lo, 0x7800, v0
	v_add_co_ci_u32_e64 v3, null, 0, v1, vcc_lo
	global_store_dword v[2:3], v81, off
	s_or_b32 exec_lo, exec_lo, s0
	s_and_b32 exec_lo, exec_lo, s4
	s_cbranch_execnz .LBB6_225
	s_branch .LBB6_226
	.section	.rodata,"a",@progbits
	.p2align	6, 0x0
	.amdhsa_kernel _Z10pnpoly_optILi32EEvPiPK15HIP_vector_typeIfLj2EES4_i
		.amdhsa_group_segment_fixed_size 0
		.amdhsa_private_segment_fixed_size 0
		.amdhsa_kernarg_size 28
		.amdhsa_user_sgpr_count 6
		.amdhsa_user_sgpr_private_segment_buffer 1
		.amdhsa_user_sgpr_dispatch_ptr 0
		.amdhsa_user_sgpr_queue_ptr 0
		.amdhsa_user_sgpr_kernarg_segment_ptr 1
		.amdhsa_user_sgpr_dispatch_id 0
		.amdhsa_user_sgpr_flat_scratch_init 0
		.amdhsa_user_sgpr_private_segment_size 0
		.amdhsa_wavefront_size32 1
		.amdhsa_uses_dynamic_stack 0
		.amdhsa_system_sgpr_private_segment_wavefront_offset 0
		.amdhsa_system_sgpr_workgroup_id_x 1
		.amdhsa_system_sgpr_workgroup_id_y 0
		.amdhsa_system_sgpr_workgroup_id_z 0
		.amdhsa_system_sgpr_workgroup_info 0
		.amdhsa_system_vgpr_workitem_id 0
		.amdhsa_next_free_vgpr 119
		.amdhsa_next_free_sgpr 46
		.amdhsa_reserve_vcc 1
		.amdhsa_reserve_flat_scratch 0
		.amdhsa_float_round_mode_32 0
		.amdhsa_float_round_mode_16_64 0
		.amdhsa_float_denorm_mode_32 3
		.amdhsa_float_denorm_mode_16_64 3
		.amdhsa_dx10_clamp 1
		.amdhsa_ieee_mode 1
		.amdhsa_fp16_overflow 0
		.amdhsa_workgroup_processor_mode 1
		.amdhsa_memory_ordered 1
		.amdhsa_forward_progress 1
		.amdhsa_shared_vgpr_count 0
		.amdhsa_exception_fp_ieee_invalid_op 0
		.amdhsa_exception_fp_denorm_src 0
		.amdhsa_exception_fp_ieee_div_zero 0
		.amdhsa_exception_fp_ieee_overflow 0
		.amdhsa_exception_fp_ieee_underflow 0
		.amdhsa_exception_fp_ieee_inexact 0
		.amdhsa_exception_int_div_zero 0
	.end_amdhsa_kernel
	.section	.text._Z10pnpoly_optILi32EEvPiPK15HIP_vector_typeIfLj2EES4_i,"axG",@progbits,_Z10pnpoly_optILi32EEvPiPK15HIP_vector_typeIfLj2EES4_i,comdat
.Lfunc_end6:
	.size	_Z10pnpoly_optILi32EEvPiPK15HIP_vector_typeIfLj2EES4_i, .Lfunc_end6-_Z10pnpoly_optILi32EEvPiPK15HIP_vector_typeIfLj2EES4_i
                                        ; -- End function
	.set _Z10pnpoly_optILi32EEvPiPK15HIP_vector_typeIfLj2EES4_i.num_vgpr, 119
	.set _Z10pnpoly_optILi32EEvPiPK15HIP_vector_typeIfLj2EES4_i.num_agpr, 0
	.set _Z10pnpoly_optILi32EEvPiPK15HIP_vector_typeIfLj2EES4_i.numbered_sgpr, 46
	.set _Z10pnpoly_optILi32EEvPiPK15HIP_vector_typeIfLj2EES4_i.num_named_barrier, 0
	.set _Z10pnpoly_optILi32EEvPiPK15HIP_vector_typeIfLj2EES4_i.private_seg_size, 0
	.set _Z10pnpoly_optILi32EEvPiPK15HIP_vector_typeIfLj2EES4_i.uses_vcc, 1
	.set _Z10pnpoly_optILi32EEvPiPK15HIP_vector_typeIfLj2EES4_i.uses_flat_scratch, 0
	.set _Z10pnpoly_optILi32EEvPiPK15HIP_vector_typeIfLj2EES4_i.has_dyn_sized_stack, 0
	.set _Z10pnpoly_optILi32EEvPiPK15HIP_vector_typeIfLj2EES4_i.has_recursion, 0
	.set _Z10pnpoly_optILi32EEvPiPK15HIP_vector_typeIfLj2EES4_i.has_indirect_call, 0
	.section	.AMDGPU.csdata,"",@progbits
; Kernel info:
; codeLenInByte = 6004
; TotalNumSgprs: 48
; NumVgprs: 119
; ScratchSize: 0
; MemoryBound: 0
; FloatMode: 240
; IeeeMode: 1
; LDSByteSize: 0 bytes/workgroup (compile time only)
; SGPRBlocks: 0
; VGPRBlocks: 14
; NumSGPRsForWavesPerEU: 48
; NumVGPRsForWavesPerEU: 119
; Occupancy: 8
; WaveLimiterHint : 0
; COMPUTE_PGM_RSRC2:SCRATCH_EN: 0
; COMPUTE_PGM_RSRC2:USER_SGPR: 6
; COMPUTE_PGM_RSRC2:TRAP_HANDLER: 0
; COMPUTE_PGM_RSRC2:TGID_X_EN: 1
; COMPUTE_PGM_RSRC2:TGID_Y_EN: 0
; COMPUTE_PGM_RSRC2:TGID_Z_EN: 0
; COMPUTE_PGM_RSRC2:TIDIG_COMP_CNT: 0
	.section	.text._Z10pnpoly_optILi64EEvPiPK15HIP_vector_typeIfLj2EES4_i,"axG",@progbits,_Z10pnpoly_optILi64EEvPiPK15HIP_vector_typeIfLj2EES4_i,comdat
	.protected	_Z10pnpoly_optILi64EEvPiPK15HIP_vector_typeIfLj2EES4_i ; -- Begin function _Z10pnpoly_optILi64EEvPiPK15HIP_vector_typeIfLj2EES4_i
	.globl	_Z10pnpoly_optILi64EEvPiPK15HIP_vector_typeIfLj2EES4_i
	.p2align	8
	.type	_Z10pnpoly_optILi64EEvPiPK15HIP_vector_typeIfLj2EES4_i,@function
_Z10pnpoly_optILi64EEvPiPK15HIP_vector_typeIfLj2EES4_i: ; @_Z10pnpoly_optILi64EEvPiPK15HIP_vector_typeIfLj2EES4_i
; %bb.0:
	s_load_dword s70, s[4:5], 0x18
	s_mov_b64 s[82:83], s[2:3]
	s_mov_b64 s[80:81], s[0:1]
	v_lshl_or_b32 v2, s6, 14, v0
	s_add_u32 s80, s80, s7
	s_addc_u32 s81, s81, 0
	s_mov_b32 s0, exec_lo
	s_waitcnt lgkmcnt(0)
	v_cmpx_gt_i32_e64 s70, v2
	s_cbranch_execz .LBB7_450
; %bb.1:
	s_load_dwordx2 s[64:65], s[4:5], 0x8
	v_ashrrev_i32_e32 v3, 31, v2
	v_lshlrev_b64 v[0:1], 3, v[2:3]
	s_waitcnt lgkmcnt(0)
	v_add_co_u32 v4, vcc_lo, s64, v0
	v_add_co_ci_u32_e64 v5, null, s65, v1, vcc_lo
	global_load_dwordx2 v[0:1], v[4:5], off
	s_waitcnt vmcnt(0)
	buffer_store_dword v0, off, s[80:83], 0 offset:24 ; 4-byte Folded Spill
	buffer_store_dword v1, off, s[80:83], 0 offset:28 ; 4-byte Folded Spill
	v_add_nc_u32_e32 v0, 0x100, v2
                                        ; implicit-def: $vgpr1
	v_cmp_gt_i32_e64 s0, s70, v0
	buffer_store_dword v0, off, s[80:83], 0 ; 4-byte Folded Spill
	buffer_store_dword v1, off, s[80:83], 0 offset:4 ; 4-byte Folded Spill
	s_and_saveexec_b32 s1, s0
	s_cbranch_execz .LBB7_3
; %bb.2:
	v_add_co_u32 v0, vcc_lo, 0x800, v4
	v_add_co_ci_u32_e64 v1, null, 0, v5, vcc_lo
	global_load_dwordx2 v[0:1], v[0:1], off
	s_waitcnt vmcnt(0)
	buffer_store_dword v0, off, s[80:83], 0 ; 4-byte Folded Spill
	buffer_store_dword v1, off, s[80:83], 0 offset:4 ; 4-byte Folded Spill
.LBB7_3:
	s_or_b32 exec_lo, exec_lo, s1
	v_add_nc_u32_e32 v0, 0x200, v2
                                        ; implicit-def: $vgpr1
	v_cmp_gt_i32_e64 s1, s70, v0
	buffer_store_dword v0, off, s[80:83], 0 offset:8 ; 4-byte Folded Spill
	buffer_store_dword v1, off, s[80:83], 0 offset:12 ; 4-byte Folded Spill
	s_and_saveexec_b32 s2, s1
	s_cbranch_execz .LBB7_5
; %bb.4:
	v_add_co_u32 v0, vcc_lo, 0x1000, v4
	v_add_co_ci_u32_e64 v1, null, 0, v5, vcc_lo
	global_load_dwordx2 v[0:1], v[0:1], off
	s_waitcnt vmcnt(0)
	buffer_store_dword v0, off, s[80:83], 0 offset:8 ; 4-byte Folded Spill
	buffer_store_dword v1, off, s[80:83], 0 offset:12 ; 4-byte Folded Spill
.LBB7_5:
	s_or_b32 exec_lo, exec_lo, s2
	v_add_nc_u32_e32 v0, 0x300, v2
                                        ; implicit-def: $vgpr1
	v_cmp_gt_i32_e64 s2, s70, v0
	buffer_store_dword v0, off, s[80:83], 0 offset:16 ; 4-byte Folded Spill
	buffer_store_dword v1, off, s[80:83], 0 offset:20 ; 4-byte Folded Spill
	s_and_saveexec_b32 s3, s2
	s_cbranch_execz .LBB7_7
; %bb.6:
	v_add_co_u32 v0, vcc_lo, 0x1800, v4
	v_add_co_ci_u32_e64 v1, null, 0, v5, vcc_lo
	global_load_dwordx2 v[0:1], v[0:1], off
	s_waitcnt vmcnt(0)
	buffer_store_dword v0, off, s[80:83], 0 offset:16 ; 4-byte Folded Spill
	buffer_store_dword v1, off, s[80:83], 0 offset:20 ; 4-byte Folded Spill
.LBB7_7:
	s_or_b32 exec_lo, exec_lo, s3
	v_or_b32_e32 v0, 0x400, v2
                                        ; implicit-def: $vgpr15
	v_cmp_gt_i32_e64 s3, s70, v0
	v_ashrrev_i32_e32 v1, 31, v0
	buffer_store_dword v0, off, s[80:83], 0 offset:296 ; 4-byte Folded Spill
	buffer_store_dword v1, off, s[80:83], 0 offset:300 ; 4-byte Folded Spill
	s_and_saveexec_b32 s6, s3
	s_cbranch_execz .LBB7_9
; %bb.8:
	s_clause 0x1
	buffer_load_dword v0, off, s[80:83], 0 offset:296
	buffer_load_dword v1, off, s[80:83], 0 offset:300
	s_waitcnt vmcnt(0)
	v_lshlrev_b64 v[0:1], 3, v[0:1]
	v_add_co_u32 v0, vcc_lo, s64, v0
	v_add_co_ci_u32_e64 v1, null, s65, v1, vcc_lo
	global_load_dwordx2 v[14:15], v[0:1], off
.LBB7_9:
	s_or_b32 exec_lo, exec_lo, s6
	v_add_nc_u32_e32 v0, 0x500, v2
                                        ; implicit-def: $vgpr19
	v_cmp_gt_i32_e64 s6, s70, v0
	s_and_saveexec_b32 s7, s6
	s_cbranch_execz .LBB7_11
; %bb.10:
	v_add_co_u32 v0, vcc_lo, 0x2800, v4
	v_add_co_ci_u32_e64 v1, null, 0, v5, vcc_lo
	global_load_dwordx2 v[18:19], v[0:1], off
.LBB7_11:
	s_or_b32 exec_lo, exec_lo, s7
	v_add_nc_u32_e32 v0, 0x600, v2
                                        ; implicit-def: $vgpr21
	v_cmp_gt_i32_e64 s7, s70, v0
	s_and_saveexec_b32 s8, s7
	s_cbranch_execz .LBB7_13
; %bb.12:
	v_add_co_u32 v0, vcc_lo, 0x3000, v4
	v_add_co_ci_u32_e64 v1, null, 0, v5, vcc_lo
	global_load_dwordx2 v[20:21], v[0:1], off
.LBB7_13:
	s_or_b32 exec_lo, exec_lo, s8
	v_add_nc_u32_e32 v0, 0x700, v2
                                        ; implicit-def: $vgpr25
	v_cmp_gt_i32_e64 s8, s70, v0
	s_and_saveexec_b32 s9, s8
	s_cbranch_execz .LBB7_15
; %bb.14:
	v_add_co_u32 v0, vcc_lo, 0x3800, v4
	v_add_co_ci_u32_e64 v1, null, 0, v5, vcc_lo
	global_load_dwordx2 v[24:25], v[0:1], off
.LBB7_15:
	s_or_b32 exec_lo, exec_lo, s9
	v_or_b32_e32 v0, 0x800, v2
                                        ; implicit-def: $vgpr27
	v_cmp_gt_i32_e64 s9, s70, v0
	v_ashrrev_i32_e32 v1, 31, v0
	buffer_store_dword v0, off, s[80:83], 0 offset:304 ; 4-byte Folded Spill
	buffer_store_dword v1, off, s[80:83], 0 offset:308 ; 4-byte Folded Spill
	s_and_saveexec_b32 s10, s9
	s_cbranch_execz .LBB7_17
; %bb.16:
	s_clause 0x1
	buffer_load_dword v0, off, s[80:83], 0 offset:304
	buffer_load_dword v1, off, s[80:83], 0 offset:308
	s_waitcnt vmcnt(0)
	v_lshlrev_b64 v[0:1], 3, v[0:1]
	v_add_co_u32 v0, vcc_lo, s64, v0
	v_add_co_ci_u32_e64 v1, null, s65, v1, vcc_lo
	global_load_dwordx2 v[26:27], v[0:1], off
.LBB7_17:
	s_or_b32 exec_lo, exec_lo, s10
	v_add_nc_u32_e32 v0, 0x900, v2
                                        ; implicit-def: $vgpr31
	v_cmp_gt_i32_e64 s10, s70, v0
	s_and_saveexec_b32 s11, s10
	s_cbranch_execz .LBB7_19
; %bb.18:
	v_add_co_u32 v0, vcc_lo, 0x4800, v4
	v_add_co_ci_u32_e64 v1, null, 0, v5, vcc_lo
	global_load_dwordx2 v[30:31], v[0:1], off
.LBB7_19:
	s_or_b32 exec_lo, exec_lo, s11
	v_add_nc_u32_e32 v0, 0xa00, v2
                                        ; implicit-def: $vgpr33
	v_cmp_gt_i32_e64 s11, s70, v0
	s_and_saveexec_b32 s12, s11
	s_cbranch_execz .LBB7_21
; %bb.20:
	v_add_co_u32 v0, vcc_lo, 0x5000, v4
	v_add_co_ci_u32_e64 v1, null, 0, v5, vcc_lo
	global_load_dwordx2 v[32:33], v[0:1], off
.LBB7_21:
	s_or_b32 exec_lo, exec_lo, s12
	v_add_nc_u32_e32 v0, 0xb00, v2
                                        ; implicit-def: $vgpr37
	v_cmp_gt_i32_e64 s12, s70, v0
	s_and_saveexec_b32 s13, s12
	s_cbranch_execz .LBB7_23
; %bb.22:
	v_add_co_u32 v0, vcc_lo, 0x5800, v4
	v_add_co_ci_u32_e64 v1, null, 0, v5, vcc_lo
	global_load_dwordx2 v[36:37], v[0:1], off
.LBB7_23:
	s_or_b32 exec_lo, exec_lo, s13
	v_or_b32_e32 v0, 0xc00, v2
                                        ; implicit-def: $vgpr41
	v_cmp_gt_i32_e64 s13, s70, v0
	v_ashrrev_i32_e32 v1, 31, v0
	buffer_store_dword v0, off, s[80:83], 0 offset:312 ; 4-byte Folded Spill
	buffer_store_dword v1, off, s[80:83], 0 offset:316 ; 4-byte Folded Spill
	s_and_saveexec_b32 s14, s13
	s_cbranch_execz .LBB7_25
; %bb.24:
	s_clause 0x1
	buffer_load_dword v0, off, s[80:83], 0 offset:312
	buffer_load_dword v1, off, s[80:83], 0 offset:316
	s_waitcnt vmcnt(0)
	v_lshlrev_b64 v[0:1], 3, v[0:1]
	v_add_co_u32 v0, vcc_lo, s64, v0
	v_add_co_ci_u32_e64 v1, null, s65, v1, vcc_lo
	global_load_dwordx2 v[40:41], v[0:1], off
.LBB7_25:
	s_or_b32 exec_lo, exec_lo, s14
	v_add_nc_u32_e32 v0, 0xd00, v2
                                        ; implicit-def: $vgpr43
	v_cmp_gt_i32_e64 s14, s70, v0
	s_and_saveexec_b32 s15, s14
	s_cbranch_execz .LBB7_27
; %bb.26:
	v_add_co_u32 v0, vcc_lo, 0x6800, v4
	v_add_co_ci_u32_e64 v1, null, 0, v5, vcc_lo
	global_load_dwordx2 v[42:43], v[0:1], off
.LBB7_27:
	s_or_b32 exec_lo, exec_lo, s15
	v_add_nc_u32_e32 v0, 0xe00, v2
                                        ; implicit-def: $vgpr47
	v_cmp_gt_i32_e64 s15, s70, v0
	s_and_saveexec_b32 s16, s15
	s_cbranch_execz .LBB7_29
; %bb.28:
	v_add_co_u32 v0, vcc_lo, 0x7000, v4
	v_add_co_ci_u32_e64 v1, null, 0, v5, vcc_lo
	global_load_dwordx2 v[46:47], v[0:1], off
.LBB7_29:
	s_or_b32 exec_lo, exec_lo, s16
	v_add_nc_u32_e32 v0, 0xf00, v2
                                        ; implicit-def: $vgpr49
	v_cmp_gt_i32_e64 s16, s70, v0
	s_and_saveexec_b32 s17, s16
	s_cbranch_execz .LBB7_31
; %bb.30:
	v_add_co_u32 v0, vcc_lo, 0x7800, v4
	v_add_co_ci_u32_e64 v1, null, 0, v5, vcc_lo
	global_load_dwordx2 v[48:49], v[0:1], off
.LBB7_31:
	s_or_b32 exec_lo, exec_lo, s17
	v_or_b32_e32 v0, 0x1000, v2
                                        ; implicit-def: $vgpr53
	v_cmp_gt_i32_e64 s17, s70, v0
	v_ashrrev_i32_e32 v1, 31, v0
	buffer_store_dword v0, off, s[80:83], 0 offset:320 ; 4-byte Folded Spill
	buffer_store_dword v1, off, s[80:83], 0 offset:324 ; 4-byte Folded Spill
	s_and_saveexec_b32 s18, s17
	s_cbranch_execz .LBB7_33
; %bb.32:
	s_clause 0x1
	buffer_load_dword v0, off, s[80:83], 0 offset:320
	buffer_load_dword v1, off, s[80:83], 0 offset:324
	s_waitcnt vmcnt(0)
	v_lshlrev_b64 v[0:1], 3, v[0:1]
	v_add_co_u32 v0, vcc_lo, s64, v0
	v_add_co_ci_u32_e64 v1, null, s65, v1, vcc_lo
	global_load_dwordx2 v[52:53], v[0:1], off
.LBB7_33:
	s_or_b32 exec_lo, exec_lo, s18
	v_add_nc_u32_e32 v0, 0x1100, v2
                                        ; implicit-def: $vgpr57
	v_cmp_gt_i32_e64 s18, s70, v0
	s_and_saveexec_b32 s19, s18
	s_cbranch_execz .LBB7_35
; %bb.34:
	v_add_co_u32 v0, vcc_lo, 0x8800, v4
	v_add_co_ci_u32_e64 v1, null, 0, v5, vcc_lo
	global_load_dwordx2 v[56:57], v[0:1], off
.LBB7_35:
	s_or_b32 exec_lo, exec_lo, s19
	v_add_nc_u32_e32 v0, 0x1200, v2
                                        ; implicit-def: $vgpr59
	v_cmp_gt_i32_e64 s19, s70, v0
	s_and_saveexec_b32 s20, s19
	s_cbranch_execz .LBB7_37
; %bb.36:
	v_add_co_u32 v0, vcc_lo, 0x9000, v4
	v_add_co_ci_u32_e64 v1, null, 0, v5, vcc_lo
	global_load_dwordx2 v[58:59], v[0:1], off
.LBB7_37:
	s_or_b32 exec_lo, exec_lo, s20
	v_add_nc_u32_e32 v0, 0x1300, v2
                                        ; implicit-def: $vgpr63
	v_cmp_gt_i32_e64 s20, s70, v0
	s_and_saveexec_b32 s21, s20
	s_cbranch_execz .LBB7_39
; %bb.38:
	v_add_co_u32 v0, vcc_lo, 0x9800, v4
	v_add_co_ci_u32_e64 v1, null, 0, v5, vcc_lo
	global_load_dwordx2 v[62:63], v[0:1], off
.LBB7_39:
	s_or_b32 exec_lo, exec_lo, s21
	v_or_b32_e32 v0, 0x1400, v2
                                        ; implicit-def: $vgpr65
	v_cmp_gt_i32_e64 s21, s70, v0
	v_ashrrev_i32_e32 v1, 31, v0
	buffer_store_dword v0, off, s[80:83], 0 offset:328 ; 4-byte Folded Spill
	buffer_store_dword v1, off, s[80:83], 0 offset:332 ; 4-byte Folded Spill
	s_and_saveexec_b32 s22, s21
	s_cbranch_execz .LBB7_41
; %bb.40:
	s_clause 0x1
	buffer_load_dword v0, off, s[80:83], 0 offset:328
	buffer_load_dword v1, off, s[80:83], 0 offset:332
	s_waitcnt vmcnt(0)
	v_lshlrev_b64 v[0:1], 3, v[0:1]
	v_add_co_u32 v0, vcc_lo, s64, v0
	v_add_co_ci_u32_e64 v1, null, s65, v1, vcc_lo
	global_load_dwordx2 v[64:65], v[0:1], off
.LBB7_41:
	s_or_b32 exec_lo, exec_lo, s22
	v_add_nc_u32_e32 v0, 0x1500, v2
                                        ; implicit-def: $vgpr69
	v_cmp_gt_i32_e64 s22, s70, v0
	s_and_saveexec_b32 s23, s22
	s_cbranch_execz .LBB7_43
; %bb.42:
	v_add_co_u32 v0, vcc_lo, 0xa800, v4
	v_add_co_ci_u32_e64 v1, null, 0, v5, vcc_lo
	global_load_dwordx2 v[68:69], v[0:1], off
.LBB7_43:
	s_or_b32 exec_lo, exec_lo, s23
	v_add_nc_u32_e32 v0, 0x1600, v2
                                        ; implicit-def: $vgpr71
	v_cmp_gt_i32_e64 s23, s70, v0
	s_and_saveexec_b32 s24, s23
	s_cbranch_execz .LBB7_45
; %bb.44:
	v_add_co_u32 v0, vcc_lo, 0xb000, v4
	v_add_co_ci_u32_e64 v1, null, 0, v5, vcc_lo
	global_load_dwordx2 v[70:71], v[0:1], off
.LBB7_45:
	s_or_b32 exec_lo, exec_lo, s24
	v_add_nc_u32_e32 v0, 0x1700, v2
                                        ; implicit-def: $vgpr75
	v_cmp_gt_i32_e64 s24, s70, v0
	s_and_saveexec_b32 s25, s24
	s_cbranch_execz .LBB7_47
; %bb.46:
	v_add_co_u32 v0, vcc_lo, 0xb800, v4
	v_add_co_ci_u32_e64 v1, null, 0, v5, vcc_lo
	global_load_dwordx2 v[74:75], v[0:1], off
.LBB7_47:
	s_or_b32 exec_lo, exec_lo, s25
	v_or_b32_e32 v0, 0x1800, v2
                                        ; implicit-def: $vgpr79
	v_cmp_gt_i32_e64 s25, s70, v0
	v_ashrrev_i32_e32 v1, 31, v0
	buffer_store_dword v0, off, s[80:83], 0 offset:336 ; 4-byte Folded Spill
	buffer_store_dword v1, off, s[80:83], 0 offset:340 ; 4-byte Folded Spill
	s_and_saveexec_b32 s26, s25
	s_cbranch_execz .LBB7_49
; %bb.48:
	s_clause 0x1
	buffer_load_dword v0, off, s[80:83], 0 offset:336
	buffer_load_dword v1, off, s[80:83], 0 offset:340
	s_waitcnt vmcnt(0)
	v_lshlrev_b64 v[0:1], 3, v[0:1]
	v_add_co_u32 v0, vcc_lo, s64, v0
	v_add_co_ci_u32_e64 v1, null, s65, v1, vcc_lo
	global_load_dwordx2 v[78:79], v[0:1], off
.LBB7_49:
	s_or_b32 exec_lo, exec_lo, s26
	v_add_nc_u32_e32 v0, 0x1900, v2
                                        ; implicit-def: $vgpr81
	v_cmp_gt_i32_e64 s26, s70, v0
	s_and_saveexec_b32 s27, s26
	s_cbranch_execz .LBB7_51
; %bb.50:
	v_add_co_u32 v0, vcc_lo, 0xc800, v4
	v_add_co_ci_u32_e64 v1, null, 0, v5, vcc_lo
	global_load_dwordx2 v[80:81], v[0:1], off
.LBB7_51:
	s_or_b32 exec_lo, exec_lo, s27
	v_add_nc_u32_e32 v0, 0x1a00, v2
                                        ; implicit-def: $vgpr85
	v_cmp_gt_i32_e64 s27, s70, v0
	s_and_saveexec_b32 s28, s27
	s_cbranch_execz .LBB7_53
; %bb.52:
	v_add_co_u32 v0, vcc_lo, 0xd000, v4
	v_add_co_ci_u32_e64 v1, null, 0, v5, vcc_lo
	global_load_dwordx2 v[84:85], v[0:1], off
.LBB7_53:
	s_or_b32 exec_lo, exec_lo, s28
	v_add_nc_u32_e32 v0, 0x1b00, v2
                                        ; implicit-def: $vgpr87
	v_cmp_gt_i32_e64 s28, s70, v0
	s_and_saveexec_b32 s29, s28
	s_cbranch_execz .LBB7_55
; %bb.54:
	v_add_co_u32 v0, vcc_lo, 0xd800, v4
	v_add_co_ci_u32_e64 v1, null, 0, v5, vcc_lo
	global_load_dwordx2 v[86:87], v[0:1], off
.LBB7_55:
	s_or_b32 exec_lo, exec_lo, s29
	v_or_b32_e32 v0, 0x1c00, v2
                                        ; implicit-def: $vgpr89
	v_cmp_gt_i32_e64 s29, s70, v0
	v_ashrrev_i32_e32 v1, 31, v0
	buffer_store_dword v0, off, s[80:83], 0 offset:344 ; 4-byte Folded Spill
	buffer_store_dword v1, off, s[80:83], 0 offset:348 ; 4-byte Folded Spill
	s_and_saveexec_b32 s30, s29
	s_cbranch_execz .LBB7_57
; %bb.56:
	s_clause 0x1
	buffer_load_dword v0, off, s[80:83], 0 offset:344
	buffer_load_dword v1, off, s[80:83], 0 offset:348
	s_waitcnt vmcnt(0)
	v_lshlrev_b64 v[0:1], 3, v[0:1]
	v_add_co_u32 v0, vcc_lo, s64, v0
	v_add_co_ci_u32_e64 v1, null, s65, v1, vcc_lo
	global_load_dwordx2 v[88:89], v[0:1], off
.LBB7_57:
	s_or_b32 exec_lo, exec_lo, s30
	v_add_nc_u32_e32 v0, 0x1d00, v2
                                        ; implicit-def: $vgpr91
	v_cmp_gt_i32_e64 s30, s70, v0
	s_and_saveexec_b32 s31, s30
	s_cbranch_execz .LBB7_59
; %bb.58:
	v_add_co_u32 v0, vcc_lo, 0xe800, v4
	v_add_co_ci_u32_e64 v1, null, 0, v5, vcc_lo
	global_load_dwordx2 v[90:91], v[0:1], off
.LBB7_59:
	s_or_b32 exec_lo, exec_lo, s31
	v_add_nc_u32_e32 v0, 0x1e00, v2
                                        ; implicit-def: $vgpr93
	v_cmp_gt_i32_e64 s31, s70, v0
	s_and_saveexec_b32 s33, s31
	s_cbranch_execz .LBB7_61
; %bb.60:
	v_add_co_u32 v0, vcc_lo, 0xf000, v4
	v_add_co_ci_u32_e64 v1, null, 0, v5, vcc_lo
	global_load_dwordx2 v[92:93], v[0:1], off
.LBB7_61:
	s_or_b32 exec_lo, exec_lo, s33
	v_add_nc_u32_e32 v0, 0x1f00, v2
                                        ; implicit-def: $vgpr95
	v_cmp_gt_i32_e64 s33, s70, v0
	s_and_saveexec_b32 s34, s33
	s_cbranch_execz .LBB7_63
; %bb.62:
	v_add_co_u32 v0, vcc_lo, 0xf800, v4
	v_add_co_ci_u32_e64 v1, null, 0, v5, vcc_lo
	global_load_dwordx2 v[94:95], v[0:1], off
.LBB7_63:
	s_or_b32 exec_lo, exec_lo, s34
	v_or_b32_e32 v0, 0x2000, v2
                                        ; implicit-def: $vgpr97
	v_cmp_gt_i32_e64 s34, s70, v0
	v_ashrrev_i32_e32 v1, 31, v0
	buffer_store_dword v0, off, s[80:83], 0 offset:352 ; 4-byte Folded Spill
	buffer_store_dword v1, off, s[80:83], 0 offset:356 ; 4-byte Folded Spill
	s_and_saveexec_b32 s35, s34
	s_cbranch_execz .LBB7_65
; %bb.64:
	s_clause 0x1
	buffer_load_dword v0, off, s[80:83], 0 offset:352
	buffer_load_dword v1, off, s[80:83], 0 offset:356
	s_waitcnt vmcnt(0)
	v_lshlrev_b64 v[0:1], 3, v[0:1]
	v_add_co_u32 v0, vcc_lo, s64, v0
	v_add_co_ci_u32_e64 v1, null, s65, v1, vcc_lo
	global_load_dwordx2 v[96:97], v[0:1], off
.LBB7_65:
	s_or_b32 exec_lo, exec_lo, s35
	v_add_nc_u32_e32 v0, 0x2100, v2
                                        ; implicit-def: $vgpr99
	v_cmp_gt_i32_e64 s35, s70, v0
	s_and_saveexec_b32 s36, s35
	s_cbranch_execz .LBB7_67
; %bb.66:
	v_add_co_u32 v0, vcc_lo, 0x10800, v4
	v_add_co_ci_u32_e64 v1, null, 0, v5, vcc_lo
	global_load_dwordx2 v[98:99], v[0:1], off
.LBB7_67:
	s_or_b32 exec_lo, exec_lo, s36
	v_add_nc_u32_e32 v0, 0x2200, v2
                                        ; implicit-def: $vgpr101
	v_cmp_gt_i32_e64 s36, s70, v0
	s_and_saveexec_b32 s37, s36
	s_cbranch_execz .LBB7_69
; %bb.68:
	v_add_co_u32 v0, vcc_lo, 0x11000, v4
	v_add_co_ci_u32_e64 v1, null, 0, v5, vcc_lo
	global_load_dwordx2 v[100:101], v[0:1], off
.LBB7_69:
	s_or_b32 exec_lo, exec_lo, s37
	v_add_nc_u32_e32 v0, 0x2300, v2
                                        ; implicit-def: $vgpr103
	v_cmp_gt_i32_e64 s37, s70, v0
	s_and_saveexec_b32 s38, s37
	s_cbranch_execz .LBB7_71
; %bb.70:
	v_add_co_u32 v0, vcc_lo, 0x11800, v4
	v_add_co_ci_u32_e64 v1, null, 0, v5, vcc_lo
	global_load_dwordx2 v[102:103], v[0:1], off
.LBB7_71:
	s_or_b32 exec_lo, exec_lo, s38
	v_or_b32_e32 v0, 0x2400, v2
                                        ; implicit-def: $vgpr105
	v_cmp_gt_i32_e64 s38, s70, v0
	v_ashrrev_i32_e32 v1, 31, v0
	buffer_store_dword v0, off, s[80:83], 0 offset:360 ; 4-byte Folded Spill
	buffer_store_dword v1, off, s[80:83], 0 offset:364 ; 4-byte Folded Spill
	s_and_saveexec_b32 s39, s38
	s_cbranch_execz .LBB7_73
; %bb.72:
	s_clause 0x1
	buffer_load_dword v0, off, s[80:83], 0 offset:360
	buffer_load_dword v1, off, s[80:83], 0 offset:364
	s_waitcnt vmcnt(0)
	v_lshlrev_b64 v[0:1], 3, v[0:1]
	v_add_co_u32 v0, vcc_lo, s64, v0
	v_add_co_ci_u32_e64 v1, null, s65, v1, vcc_lo
	global_load_dwordx2 v[104:105], v[0:1], off
.LBB7_73:
	s_or_b32 exec_lo, exec_lo, s39
	v_add_nc_u32_e32 v0, 0x2500, v2
                                        ; implicit-def: $vgpr107
	v_cmp_gt_i32_e64 s39, s70, v0
	s_and_saveexec_b32 s40, s39
	s_cbranch_execz .LBB7_75
; %bb.74:
	v_add_co_u32 v0, vcc_lo, 0x12800, v4
	v_add_co_ci_u32_e64 v1, null, 0, v5, vcc_lo
	global_load_dwordx2 v[106:107], v[0:1], off
.LBB7_75:
	s_or_b32 exec_lo, exec_lo, s40
	v_add_nc_u32_e32 v0, 0x2600, v2
                                        ; implicit-def: $vgpr109
	v_cmp_gt_i32_e64 s40, s70, v0
	s_and_saveexec_b32 s41, s40
	s_cbranch_execz .LBB7_77
; %bb.76:
	v_add_co_u32 v0, vcc_lo, 0x13000, v4
	v_add_co_ci_u32_e64 v1, null, 0, v5, vcc_lo
	global_load_dwordx2 v[108:109], v[0:1], off
.LBB7_77:
	s_or_b32 exec_lo, exec_lo, s41
	v_add_nc_u32_e32 v0, 0x2700, v2
                                        ; implicit-def: $vgpr111
	v_cmp_gt_i32_e64 s41, s70, v0
	s_and_saveexec_b32 s42, s41
	s_cbranch_execz .LBB7_79
; %bb.78:
	v_add_co_u32 v0, vcc_lo, 0x13800, v4
	v_add_co_ci_u32_e64 v1, null, 0, v5, vcc_lo
	global_load_dwordx2 v[110:111], v[0:1], off
.LBB7_79:
	s_or_b32 exec_lo, exec_lo, s42
	v_or_b32_e32 v0, 0x2800, v2
                                        ; implicit-def: $vgpr113
	v_cmp_gt_i32_e64 s42, s70, v0
	v_ashrrev_i32_e32 v1, 31, v0
	buffer_store_dword v0, off, s[80:83], 0 offset:368 ; 4-byte Folded Spill
	buffer_store_dword v1, off, s[80:83], 0 offset:372 ; 4-byte Folded Spill
	s_and_saveexec_b32 s43, s42
	s_cbranch_execz .LBB7_81
; %bb.80:
	s_clause 0x1
	buffer_load_dword v0, off, s[80:83], 0 offset:368
	buffer_load_dword v1, off, s[80:83], 0 offset:372
	s_waitcnt vmcnt(0)
	v_lshlrev_b64 v[0:1], 3, v[0:1]
	v_add_co_u32 v0, vcc_lo, s64, v0
	v_add_co_ci_u32_e64 v1, null, s65, v1, vcc_lo
	global_load_dwordx2 v[112:113], v[0:1], off
.LBB7_81:
	s_or_b32 exec_lo, exec_lo, s43
	v_add_nc_u32_e32 v0, 0x2900, v2
                                        ; implicit-def: $vgpr115
	v_cmp_gt_i32_e64 s43, s70, v0
	s_and_saveexec_b32 s44, s43
	s_cbranch_execz .LBB7_83
; %bb.82:
	v_add_co_u32 v0, vcc_lo, 0x14800, v4
	v_add_co_ci_u32_e64 v1, null, 0, v5, vcc_lo
	global_load_dwordx2 v[114:115], v[0:1], off
.LBB7_83:
	s_or_b32 exec_lo, exec_lo, s44
	v_add_nc_u32_e32 v0, 0x2a00, v2
                                        ; implicit-def: $vgpr117
	v_cmp_gt_i32_e64 s44, s70, v0
	s_and_saveexec_b32 s45, s44
	s_cbranch_execz .LBB7_85
; %bb.84:
	v_add_co_u32 v0, vcc_lo, 0x15000, v4
	v_add_co_ci_u32_e64 v1, null, 0, v5, vcc_lo
	global_load_dwordx2 v[116:117], v[0:1], off
.LBB7_85:
	s_or_b32 exec_lo, exec_lo, s45
	v_add_nc_u32_e32 v0, 0x2b00, v2
                                        ; implicit-def: $vgpr119
	v_cmp_gt_i32_e64 s45, s70, v0
	s_and_saveexec_b32 s46, s45
	s_cbranch_execz .LBB7_87
; %bb.86:
	v_add_co_u32 v0, vcc_lo, 0x15800, v4
	v_add_co_ci_u32_e64 v1, null, 0, v5, vcc_lo
	global_load_dwordx2 v[118:119], v[0:1], off
.LBB7_87:
	s_or_b32 exec_lo, exec_lo, s46
	v_or_b32_e32 v0, 0x2c00, v2
                                        ; implicit-def: $vgpr121
	v_cmp_gt_i32_e64 s46, s70, v0
	v_ashrrev_i32_e32 v1, 31, v0
	buffer_store_dword v0, off, s[80:83], 0 offset:376 ; 4-byte Folded Spill
	buffer_store_dword v1, off, s[80:83], 0 offset:380 ; 4-byte Folded Spill
	s_and_saveexec_b32 s47, s46
	s_cbranch_execz .LBB7_89
; %bb.88:
	s_clause 0x1
	buffer_load_dword v0, off, s[80:83], 0 offset:376
	buffer_load_dword v1, off, s[80:83], 0 offset:380
	s_waitcnt vmcnt(0)
	v_lshlrev_b64 v[0:1], 3, v[0:1]
	v_add_co_u32 v0, vcc_lo, s64, v0
	v_add_co_ci_u32_e64 v1, null, s65, v1, vcc_lo
	global_load_dwordx2 v[120:121], v[0:1], off
.LBB7_89:
	s_or_b32 exec_lo, exec_lo, s47
	v_add_nc_u32_e32 v0, 0x2d00, v2
                                        ; implicit-def: $vgpr123
	v_cmp_gt_i32_e64 s47, s70, v0
	s_and_saveexec_b32 s48, s47
	s_cbranch_execz .LBB7_91
; %bb.90:
	v_add_co_u32 v0, vcc_lo, 0x16800, v4
	v_add_co_ci_u32_e64 v1, null, 0, v5, vcc_lo
	global_load_dwordx2 v[122:123], v[0:1], off
.LBB7_91:
	s_or_b32 exec_lo, exec_lo, s48
	v_add_nc_u32_e32 v0, 0x2e00, v2
                                        ; implicit-def: $vgpr125
	v_cmp_gt_i32_e64 s48, s70, v0
	s_and_saveexec_b32 s49, s48
	s_cbranch_execz .LBB7_93
; %bb.92:
	v_add_co_u32 v0, vcc_lo, 0x17000, v4
	v_add_co_ci_u32_e64 v1, null, 0, v5, vcc_lo
	global_load_dwordx2 v[124:125], v[0:1], off
.LBB7_93:
	s_or_b32 exec_lo, exec_lo, s49
	v_add_nc_u32_e32 v0, 0x2f00, v2
                                        ; implicit-def: $vgpr127
	v_cmp_gt_i32_e64 s49, s70, v0
	s_and_saveexec_b32 s50, s49
	s_cbranch_execz .LBB7_95
; %bb.94:
	v_add_co_u32 v0, vcc_lo, 0x17800, v4
	v_add_co_ci_u32_e64 v1, null, 0, v5, vcc_lo
	global_load_dwordx2 v[126:127], v[0:1], off
.LBB7_95:
	s_or_b32 exec_lo, exec_lo, s50
	v_or_b32_e32 v0, 0x3000, v2
                                        ; implicit-def: $vgpr7
	v_cmp_gt_i32_e64 s50, s70, v0
	v_ashrrev_i32_e32 v1, 31, v0
	buffer_store_dword v0, off, s[80:83], 0 offset:384 ; 4-byte Folded Spill
	buffer_store_dword v1, off, s[80:83], 0 offset:388 ; 4-byte Folded Spill
	s_and_saveexec_b32 s51, s50
	s_cbranch_execz .LBB7_97
; %bb.96:
	s_clause 0x1
	buffer_load_dword v0, off, s[80:83], 0 offset:384
	buffer_load_dword v1, off, s[80:83], 0 offset:388
	s_waitcnt vmcnt(0)
	v_lshlrev_b64 v[0:1], 3, v[0:1]
	v_add_co_u32 v0, vcc_lo, s64, v0
	v_add_co_ci_u32_e64 v1, null, s65, v1, vcc_lo
	global_load_dwordx2 v[6:7], v[0:1], off
.LBB7_97:
	s_or_b32 exec_lo, exec_lo, s51
	v_add_nc_u32_e32 v0, 0x3100, v2
                                        ; implicit-def: $vgpr13
	v_cmp_gt_i32_e64 s51, s70, v0
	s_and_saveexec_b32 s52, s51
	s_cbranch_execz .LBB7_99
; %bb.98:
	v_add_co_u32 v0, vcc_lo, 0x18800, v4
	v_add_co_ci_u32_e64 v1, null, 0, v5, vcc_lo
	global_load_dwordx2 v[12:13], v[0:1], off
.LBB7_99:
	s_or_b32 exec_lo, exec_lo, s52
	v_add_nc_u32_e32 v0, 0x3200, v2
                                        ; implicit-def: $vgpr17
	v_cmp_gt_i32_e64 s52, s70, v0
	s_and_saveexec_b32 s53, s52
	s_cbranch_execz .LBB7_101
; %bb.100:
	v_add_co_u32 v0, vcc_lo, 0x19000, v4
	v_add_co_ci_u32_e64 v1, null, 0, v5, vcc_lo
	global_load_dwordx2 v[16:17], v[0:1], off
.LBB7_101:
	s_or_b32 exec_lo, exec_lo, s53
	v_add_nc_u32_e32 v0, 0x3300, v2
                                        ; implicit-def: $vgpr23
	v_cmp_gt_i32_e64 s53, s70, v0
	s_and_saveexec_b32 s54, s53
	s_cbranch_execz .LBB7_103
; %bb.102:
	v_add_co_u32 v0, vcc_lo, 0x19800, v4
	v_add_co_ci_u32_e64 v1, null, 0, v5, vcc_lo
	global_load_dwordx2 v[22:23], v[0:1], off
.LBB7_103:
	s_or_b32 exec_lo, exec_lo, s54
	v_or_b32_e32 v0, 0x3400, v2
                                        ; implicit-def: $vgpr29
	v_cmp_gt_i32_e64 s54, s70, v0
	v_ashrrev_i32_e32 v1, 31, v0
	buffer_store_dword v0, off, s[80:83], 0 offset:392 ; 4-byte Folded Spill
	buffer_store_dword v1, off, s[80:83], 0 offset:396 ; 4-byte Folded Spill
	s_and_saveexec_b32 s55, s54
	s_cbranch_execz .LBB7_105
; %bb.104:
	s_clause 0x1
	buffer_load_dword v0, off, s[80:83], 0 offset:392
	buffer_load_dword v1, off, s[80:83], 0 offset:396
	s_waitcnt vmcnt(0)
	v_lshlrev_b64 v[0:1], 3, v[0:1]
	v_add_co_u32 v0, vcc_lo, s64, v0
	v_add_co_ci_u32_e64 v1, null, s65, v1, vcc_lo
	global_load_dwordx2 v[28:29], v[0:1], off
.LBB7_105:
	s_or_b32 exec_lo, exec_lo, s55
	v_add_nc_u32_e32 v0, 0x3500, v2
                                        ; implicit-def: $vgpr35
	v_cmp_gt_i32_e64 s55, s70, v0
	s_and_saveexec_b32 s56, s55
	s_cbranch_execz .LBB7_107
; %bb.106:
	v_add_co_u32 v0, vcc_lo, 0x1a800, v4
	v_add_co_ci_u32_e64 v1, null, 0, v5, vcc_lo
	global_load_dwordx2 v[34:35], v[0:1], off
.LBB7_107:
	s_or_b32 exec_lo, exec_lo, s56
	v_add_nc_u32_e32 v0, 0x3600, v2
                                        ; implicit-def: $vgpr39
	v_cmp_gt_i32_e64 s56, s70, v0
	s_and_saveexec_b32 s57, s56
	s_cbranch_execz .LBB7_109
; %bb.108:
	v_add_co_u32 v0, vcc_lo, 0x1b000, v4
	v_add_co_ci_u32_e64 v1, null, 0, v5, vcc_lo
	global_load_dwordx2 v[38:39], v[0:1], off
.LBB7_109:
	s_or_b32 exec_lo, exec_lo, s57
	v_add_nc_u32_e32 v0, 0x3700, v2
                                        ; implicit-def: $vgpr45
	v_cmp_gt_i32_e64 s57, s70, v0
	s_and_saveexec_b32 s58, s57
	s_cbranch_execz .LBB7_111
; %bb.110:
	v_add_co_u32 v0, vcc_lo, 0x1b800, v4
	v_add_co_ci_u32_e64 v1, null, 0, v5, vcc_lo
	global_load_dwordx2 v[44:45], v[0:1], off
.LBB7_111:
	s_or_b32 exec_lo, exec_lo, s58
	v_or_b32_e32 v0, 0x3800, v2
                                        ; implicit-def: $vgpr51
	v_cmp_gt_i32_e64 s58, s70, v0
	v_ashrrev_i32_e32 v1, 31, v0
	buffer_store_dword v0, off, s[80:83], 0 offset:400 ; 4-byte Folded Spill
	buffer_store_dword v1, off, s[80:83], 0 offset:404 ; 4-byte Folded Spill
	s_and_saveexec_b32 s59, s58
	s_cbranch_execz .LBB7_113
; %bb.112:
	s_clause 0x1
	buffer_load_dword v0, off, s[80:83], 0 offset:400
	buffer_load_dword v1, off, s[80:83], 0 offset:404
	s_waitcnt vmcnt(0)
	v_lshlrev_b64 v[0:1], 3, v[0:1]
	v_add_co_u32 v0, vcc_lo, s64, v0
	v_add_co_ci_u32_e64 v1, null, s65, v1, vcc_lo
	global_load_dwordx2 v[50:51], v[0:1], off
.LBB7_113:
	s_or_b32 exec_lo, exec_lo, s59
	v_add_nc_u32_e32 v0, 0x3900, v2
                                        ; implicit-def: $vgpr55
	v_cmp_gt_i32_e64 s59, s70, v0
	s_and_saveexec_b32 s60, s59
	s_cbranch_execz .LBB7_115
; %bb.114:
	v_add_co_u32 v0, vcc_lo, 0x1c800, v4
	v_add_co_ci_u32_e64 v1, null, 0, v5, vcc_lo
	global_load_dwordx2 v[54:55], v[0:1], off
.LBB7_115:
	s_or_b32 exec_lo, exec_lo, s60
	v_add_nc_u32_e32 v0, 0x3a00, v2
                                        ; implicit-def: $vgpr61
	v_cmp_gt_i32_e64 s60, s70, v0
	s_and_saveexec_b32 s61, s60
	s_cbranch_execz .LBB7_117
; %bb.116:
	v_add_co_u32 v0, vcc_lo, 0x1d000, v4
	v_add_co_ci_u32_e64 v1, null, 0, v5, vcc_lo
	global_load_dwordx2 v[60:61], v[0:1], off
.LBB7_117:
	s_or_b32 exec_lo, exec_lo, s61
	v_add_nc_u32_e32 v0, 0x3b00, v2
                                        ; implicit-def: $vgpr67
	v_cmp_gt_i32_e64 s61, s70, v0
	s_and_saveexec_b32 s62, s61
	s_cbranch_execz .LBB7_119
; %bb.118:
	v_add_co_u32 v0, vcc_lo, 0x1d800, v4
	v_add_co_ci_u32_e64 v1, null, 0, v5, vcc_lo
	global_load_dwordx2 v[66:67], v[0:1], off
.LBB7_119:
	s_or_b32 exec_lo, exec_lo, s62
	v_or_b32_e32 v0, 0x3c00, v2
                                        ; implicit-def: $vgpr73
	v_cmp_gt_i32_e64 s62, s70, v0
	v_ashrrev_i32_e32 v1, 31, v0
	buffer_store_dword v0, off, s[80:83], 0 offset:408 ; 4-byte Folded Spill
	buffer_store_dword v1, off, s[80:83], 0 offset:412 ; 4-byte Folded Spill
	s_and_saveexec_b32 s63, s62
	s_cbranch_execz .LBB7_121
; %bb.120:
	s_clause 0x1
	buffer_load_dword v0, off, s[80:83], 0 offset:408
	buffer_load_dword v1, off, s[80:83], 0 offset:412
	s_waitcnt vmcnt(0)
	v_lshlrev_b64 v[0:1], 3, v[0:1]
	v_add_co_u32 v0, vcc_lo, s64, v0
	v_add_co_ci_u32_e64 v1, null, s65, v1, vcc_lo
	global_load_dwordx2 v[72:73], v[0:1], off
.LBB7_121:
	s_or_b32 exec_lo, exec_lo, s63
	v_add_nc_u32_e32 v0, 0x3d00, v2
                                        ; implicit-def: $vgpr77
	v_cmp_gt_i32_e64 s63, s70, v0
	s_and_saveexec_b32 s64, s63
	s_cbranch_execz .LBB7_123
; %bb.122:
	v_add_co_u32 v0, vcc_lo, 0x1e800, v4
	v_add_co_ci_u32_e64 v1, null, 0, v5, vcc_lo
	global_load_dwordx2 v[76:77], v[0:1], off
.LBB7_123:
	s_or_b32 exec_lo, exec_lo, s64
	s_load_dwordx2 s[68:69], s[4:5], 0x10
	v_add_nc_u32_e32 v0, 0x3e00, v2
                                        ; implicit-def: $vgpr83
	v_cmp_gt_i32_e64 s64, s70, v0
	s_and_saveexec_b32 s65, s64
	s_cbranch_execz .LBB7_125
; %bb.124:
	v_add_co_u32 v0, vcc_lo, 0x1f000, v4
	v_add_co_ci_u32_e64 v1, null, 0, v5, vcc_lo
	global_load_dwordx2 v[82:83], v[0:1], off
.LBB7_125:
	s_or_b32 exec_lo, exec_lo, s65
	s_load_dwordx2 s[66:67], s[4:5], 0x0
	v_add_nc_u32_e32 v0, 0x3f00, v2
	v_cmp_gt_i32_e64 s4, s70, v0
                                        ; implicit-def: $vgpr1
	s_and_saveexec_b32 s5, s4
	s_cbranch_execz .LBB7_127
; %bb.126:
	v_add_co_u32 v0, vcc_lo, 0x1f800, v4
	v_add_co_ci_u32_e64 v1, null, 0, v5, vcc_lo
	global_load_dwordx2 v[0:1], v[0:1], off
.LBB7_127:
	s_or_b32 exec_lo, exec_lo, s5
	buffer_store_dword v2, off, s[80:83], 0 offset:32 ; 4-byte Folded Spill
	buffer_store_dword v3, off, s[80:83], 0 offset:36 ; 4-byte Folded Spill
	v_mov_b32_e32 v2, 0
	s_waitcnt lgkmcnt(0)
	s_load_dwordx2 s[70:71], s[68:69], 0x12b8
	s_mov_b64 s[72:73], 0
	buffer_store_dword v2, off, s[80:83], 0 offset:44 ; 4-byte Folded Spill
	v_mov_b32_e32 v2, 0
	buffer_store_dword v2, off, s[80:83], 0 offset:48 ; 4-byte Folded Spill
	v_mov_b32_e32 v2, 0
	;; [unrolled: 2-line block ×3, first 2 shown]
	s_waitcnt lgkmcnt(0)
	s_mov_b32 s74, s70
	buffer_store_dword v2, off, s[80:83], 0 offset:56 ; 4-byte Folded Spill
	v_mov_b32_e32 v2, 0
	buffer_store_dword v2, off, s[80:83], 0 offset:60 ; 4-byte Folded Spill
	v_mov_b32_e32 v2, 0
	;; [unrolled: 2-line block ×60, first 2 shown]
	buffer_store_dword v2, off, s[80:83], 0 offset:40 ; 4-byte Folded Spill
.LBB7_128:                              ; =>This Inner Loop Header: Depth=1
	s_add_u32 s76, s68, s72
	s_addc_u32 s77, s69, s73
	s_mov_b32 s5, s74
	s_load_dwordx2 s[74:75], s[76:77], 0x0
	s_waitcnt lgkmcnt(0)
	v_sub_f32_e64 v4, s5, s74
	v_sub_f32_e64 v5, s71, s75
	v_div_scale_f32 v2, null, v5, v5, v4
	v_div_scale_f32 v9, vcc_lo, v4, v5, v4
	v_rcp_f32_e32 v3, v2
	v_fma_f32 v8, -v2, v3, 1.0
	v_fmac_f32_e32 v3, v8, v3
	v_mul_f32_e32 v8, v9, v3
	v_fma_f32 v10, -v2, v8, v9
	v_fmac_f32_e32 v8, v10, v3
	v_fma_f32 v2, -v2, v8, v9
	v_div_fmas_f32 v2, v2, v3, v8
	s_clause 0x1
	buffer_load_dword v8, off, s[80:83], 0 offset:24
	buffer_load_dword v9, off, s[80:83], 0 offset:28
	v_div_fixup_f32 v4, v2, v5, v4
	s_waitcnt vmcnt(0)
	v_cmp_gt_f32_e32 vcc_lo, s75, v9
	v_cmp_ngt_f32_e64 s5, s71, v9
	s_xor_b32 s5, vcc_lo, s5
	s_xor_b32 s65, s5, -1
	s_and_saveexec_b32 s5, s65
	s_cbranch_execz .LBB7_132
; %bb.129:                              ;   in Loop: Header=BB7_128 Depth=1
	s_clause 0x1
	buffer_load_dword v8, off, s[80:83], 0 offset:24
	buffer_load_dword v9, off, s[80:83], 0 offset:28
	s_mov_b32 s65, exec_lo
	s_waitcnt vmcnt(0)
	v_subrev_f32_e32 v2, s75, v9
	v_fma_f32 v2, v4, v2, s74
	v_cmpx_lt_f32_e32 v8, v2
	s_cbranch_execz .LBB7_131
; %bb.130:                              ;   in Loop: Header=BB7_128 Depth=1
	buffer_load_dword v2, off, s[80:83], 0 offset:40 ; 4-byte Folded Reload
	s_waitcnt vmcnt(0)
	v_cmp_eq_u32_e32 vcc_lo, 0, v2
	v_cndmask_b32_e64 v2, 0, 1, vcc_lo
	buffer_store_dword v2, off, s[80:83], 0 offset:40 ; 4-byte Folded Spill
.LBB7_131:                              ;   in Loop: Header=BB7_128 Depth=1
	s_or_b32 exec_lo, exec_lo, s65
.LBB7_132:                              ;   in Loop: Header=BB7_128 Depth=1
	s_or_b32 exec_lo, exec_lo, s5
	s_clause 0x1
	buffer_load_dword v2, off, s[80:83], 0
	buffer_load_dword v3, off, s[80:83], 0 offset:4
	s_waitcnt vmcnt(0)
	v_cmp_gt_f32_e32 vcc_lo, s75, v3
	v_cmp_ngt_f32_e64 s5, s71, v3
	s_xor_b32 s5, vcc_lo, s5
	s_xor_b32 s65, s5, -1
	s_mov_b32 s5, exec_lo
	s_clause 0x1
	buffer_load_dword v8, off, s[80:83], 0 offset:32
	buffer_load_dword v9, off, s[80:83], 0 offset:36
	s_and_b32 s65, s5, s65
	s_mov_b32 exec_lo, s65
	s_cbranch_execz .LBB7_136
; %bb.133:                              ;   in Loop: Header=BB7_128 Depth=1
	s_clause 0x1
	buffer_load_dword v10, off, s[80:83], 0
	buffer_load_dword v11, off, s[80:83], 0 offset:4
	s_mov_b32 s65, exec_lo
	s_waitcnt vmcnt(0)
	v_subrev_f32_e32 v2, s75, v11
	v_fma_f32 v2, v4, v2, s74
	v_cmpx_lt_f32_e32 v10, v2
	s_cbranch_execz .LBB7_135
; %bb.134:                              ;   in Loop: Header=BB7_128 Depth=1
	buffer_load_dword v2, off, s[80:83], 0 offset:292 ; 4-byte Folded Reload
	s_waitcnt vmcnt(0)
	v_cmp_eq_u32_e32 vcc_lo, 0, v2
	v_cndmask_b32_e64 v2, 0, 1, vcc_lo
	buffer_store_dword v2, off, s[80:83], 0 offset:292 ; 4-byte Folded Spill
.LBB7_135:                              ;   in Loop: Header=BB7_128 Depth=1
	s_or_b32 exec_lo, exec_lo, s65
.LBB7_136:                              ;   in Loop: Header=BB7_128 Depth=1
	s_or_b32 exec_lo, exec_lo, s5
	s_clause 0x1
	buffer_load_dword v2, off, s[80:83], 0 offset:8
	buffer_load_dword v3, off, s[80:83], 0 offset:12
	s_waitcnt vmcnt(0)
	v_cmp_gt_f32_e32 vcc_lo, s75, v3
	v_cmp_ngt_f32_e64 s5, s71, v3
	s_xor_b32 s5, vcc_lo, s5
	s_xor_b32 s65, s5, -1
	s_and_saveexec_b32 s5, s65
	s_cbranch_execz .LBB7_140
; %bb.137:                              ;   in Loop: Header=BB7_128 Depth=1
	s_clause 0x1
	buffer_load_dword v10, off, s[80:83], 0 offset:8
	buffer_load_dword v11, off, s[80:83], 0 offset:12
	s_mov_b32 s65, exec_lo
	s_waitcnt vmcnt(0)
	v_subrev_f32_e32 v2, s75, v11
	v_fma_f32 v2, v4, v2, s74
	v_cmpx_lt_f32_e32 v10, v2
	s_cbranch_execz .LBB7_139
; %bb.138:                              ;   in Loop: Header=BB7_128 Depth=1
	buffer_load_dword v2, off, s[80:83], 0 offset:288 ; 4-byte Folded Reload
	s_waitcnt vmcnt(0)
	v_cmp_eq_u32_e32 vcc_lo, 0, v2
	v_cndmask_b32_e64 v2, 0, 1, vcc_lo
	buffer_store_dword v2, off, s[80:83], 0 offset:288 ; 4-byte Folded Spill
.LBB7_139:                              ;   in Loop: Header=BB7_128 Depth=1
	s_or_b32 exec_lo, exec_lo, s65
.LBB7_140:                              ;   in Loop: Header=BB7_128 Depth=1
	s_or_b32 exec_lo, exec_lo, s5
	s_clause 0x1
	buffer_load_dword v2, off, s[80:83], 0 offset:16
	buffer_load_dword v3, off, s[80:83], 0 offset:20
	s_waitcnt vmcnt(0)
	v_cmp_gt_f32_e32 vcc_lo, s75, v3
	v_cmp_ngt_f32_e64 s5, s71, v3
	s_xor_b32 s5, vcc_lo, s5
	s_xor_b32 s65, s5, -1
	s_and_saveexec_b32 s5, s65
	s_cbranch_execz .LBB7_144
; %bb.141:                              ;   in Loop: Header=BB7_128 Depth=1
	s_clause 0x1
	buffer_load_dword v10, off, s[80:83], 0 offset:16
	buffer_load_dword v11, off, s[80:83], 0 offset:20
	s_mov_b32 s65, exec_lo
	s_waitcnt vmcnt(0)
	v_subrev_f32_e32 v2, s75, v11
	v_fma_f32 v2, v4, v2, s74
	v_cmpx_lt_f32_e32 v10, v2
	s_cbranch_execz .LBB7_143
; %bb.142:                              ;   in Loop: Header=BB7_128 Depth=1
	buffer_load_dword v2, off, s[80:83], 0 offset:284 ; 4-byte Folded Reload
	s_waitcnt vmcnt(0)
	v_cmp_eq_u32_e32 vcc_lo, 0, v2
	v_cndmask_b32_e64 v2, 0, 1, vcc_lo
	buffer_store_dword v2, off, s[80:83], 0 offset:284 ; 4-byte Folded Spill
.LBB7_143:                              ;   in Loop: Header=BB7_128 Depth=1
	s_or_b32 exec_lo, exec_lo, s65
.LBB7_144:                              ;   in Loop: Header=BB7_128 Depth=1
	s_or_b32 exec_lo, exec_lo, s5
	v_cmp_gt_f32_e32 vcc_lo, s75, v15
	v_cmp_ngt_f32_e64 s5, s71, v15
	s_xor_b32 s5, vcc_lo, s5
	s_xor_b32 s65, s5, -1
	s_and_saveexec_b32 s5, s65
	s_cbranch_execz .LBB7_148
; %bb.145:                              ;   in Loop: Header=BB7_128 Depth=1
	v_subrev_f32_e32 v2, s75, v15
	s_mov_b32 s65, exec_lo
	v_fma_f32 v2, v4, v2, s74
	v_cmpx_lt_f32_e32 v14, v2
	s_cbranch_execz .LBB7_147
; %bb.146:                              ;   in Loop: Header=BB7_128 Depth=1
	buffer_load_dword v2, off, s[80:83], 0 offset:280 ; 4-byte Folded Reload
	s_waitcnt vmcnt(0)
	v_cmp_eq_u32_e32 vcc_lo, 0, v2
	v_cndmask_b32_e64 v2, 0, 1, vcc_lo
	buffer_store_dword v2, off, s[80:83], 0 offset:280 ; 4-byte Folded Spill
.LBB7_147:                              ;   in Loop: Header=BB7_128 Depth=1
	s_or_b32 exec_lo, exec_lo, s65
.LBB7_148:                              ;   in Loop: Header=BB7_128 Depth=1
	s_or_b32 exec_lo, exec_lo, s5
	v_cmp_gt_f32_e32 vcc_lo, s75, v19
	v_cmp_ngt_f32_e64 s5, s71, v19
	s_xor_b32 s5, vcc_lo, s5
	s_xor_b32 s65, s5, -1
	s_and_saveexec_b32 s5, s65
	s_cbranch_execz .LBB7_152
; %bb.149:                              ;   in Loop: Header=BB7_128 Depth=1
	v_subrev_f32_e32 v2, s75, v19
	s_mov_b32 s65, exec_lo
	v_fma_f32 v2, v4, v2, s74
	v_cmpx_lt_f32_e32 v18, v2
	s_cbranch_execz .LBB7_151
; %bb.150:                              ;   in Loop: Header=BB7_128 Depth=1
	buffer_load_dword v2, off, s[80:83], 0 offset:276 ; 4-byte Folded Reload
	s_waitcnt vmcnt(0)
	v_cmp_eq_u32_e32 vcc_lo, 0, v2
	v_cndmask_b32_e64 v2, 0, 1, vcc_lo
	buffer_store_dword v2, off, s[80:83], 0 offset:276 ; 4-byte Folded Spill
.LBB7_151:                              ;   in Loop: Header=BB7_128 Depth=1
	s_or_b32 exec_lo, exec_lo, s65
.LBB7_152:                              ;   in Loop: Header=BB7_128 Depth=1
	;; [unrolled: 22-line block ×60, first 2 shown]
	s_or_b32 exec_lo, exec_lo, s5
	s_add_u32 s72, s72, 8
	s_addc_u32 s73, s73, 0
	s_cmpk_lg_i32 s72, 0x12c0
	s_cbranch_scc0 .LBB7_386
; %bb.385:                              ;   in Loop: Header=BB7_128 Depth=1
	s_mov_b32 s71, s75
	s_branch .LBB7_128
.LBB7_386:
	buffer_load_dword v2, off, s[80:83], 0 offset:40 ; 4-byte Folded Reload
	v_lshlrev_b64 v[0:1], 2, v[8:9]
	v_add_co_u32 v0, vcc_lo, s66, v0
	v_add_co_ci_u32_e64 v1, null, s67, v1, vcc_lo
	s_waitcnt vmcnt(0)
	global_store_dword v[0:1], v2, off
	s_and_saveexec_b32 s5, s0
	s_cbranch_execnz .LBB7_451
; %bb.387:
	s_or_b32 exec_lo, exec_lo, s5
	s_and_saveexec_b32 s0, s1
	s_cbranch_execnz .LBB7_452
.LBB7_388:
	s_or_b32 exec_lo, exec_lo, s0
	s_and_saveexec_b32 s0, s2
	s_cbranch_execnz .LBB7_453
.LBB7_389:
	s_or_b32 exec_lo, exec_lo, s0
	s_and_saveexec_b32 s0, s3
	s_cbranch_execnz .LBB7_454
.LBB7_390:
	s_or_b32 exec_lo, exec_lo, s0
	s_and_saveexec_b32 s0, s6
	s_cbranch_execnz .LBB7_455
.LBB7_391:
	s_or_b32 exec_lo, exec_lo, s0
	s_and_saveexec_b32 s0, s7
	s_cbranch_execnz .LBB7_456
.LBB7_392:
	s_or_b32 exec_lo, exec_lo, s0
	s_and_saveexec_b32 s0, s8
	s_cbranch_execnz .LBB7_457
.LBB7_393:
	s_or_b32 exec_lo, exec_lo, s0
	s_and_saveexec_b32 s0, s9
	s_cbranch_execnz .LBB7_458
.LBB7_394:
	s_or_b32 exec_lo, exec_lo, s0
	s_and_saveexec_b32 s0, s10
	s_cbranch_execnz .LBB7_459
.LBB7_395:
	s_or_b32 exec_lo, exec_lo, s0
	s_and_saveexec_b32 s0, s11
	s_cbranch_execnz .LBB7_460
.LBB7_396:
	s_or_b32 exec_lo, exec_lo, s0
	s_and_saveexec_b32 s0, s12
	s_cbranch_execnz .LBB7_461
.LBB7_397:
	s_or_b32 exec_lo, exec_lo, s0
	s_and_saveexec_b32 s0, s13
	s_cbranch_execnz .LBB7_462
.LBB7_398:
	s_or_b32 exec_lo, exec_lo, s0
	s_and_saveexec_b32 s0, s14
	s_cbranch_execnz .LBB7_463
.LBB7_399:
	s_or_b32 exec_lo, exec_lo, s0
	s_and_saveexec_b32 s0, s15
	s_cbranch_execnz .LBB7_464
.LBB7_400:
	s_or_b32 exec_lo, exec_lo, s0
	s_and_saveexec_b32 s0, s16
	s_cbranch_execnz .LBB7_465
.LBB7_401:
	s_or_b32 exec_lo, exec_lo, s0
	s_and_saveexec_b32 s0, s17
	s_cbranch_execnz .LBB7_466
.LBB7_402:
	s_or_b32 exec_lo, exec_lo, s0
	s_and_saveexec_b32 s0, s18
	s_cbranch_execnz .LBB7_467
.LBB7_403:
	s_or_b32 exec_lo, exec_lo, s0
	s_and_saveexec_b32 s0, s19
	s_cbranch_execnz .LBB7_468
.LBB7_404:
	s_or_b32 exec_lo, exec_lo, s0
	s_and_saveexec_b32 s0, s20
	s_cbranch_execnz .LBB7_469
.LBB7_405:
	s_or_b32 exec_lo, exec_lo, s0
	s_and_saveexec_b32 s0, s21
	s_cbranch_execnz .LBB7_470
.LBB7_406:
	s_or_b32 exec_lo, exec_lo, s0
	s_and_saveexec_b32 s0, s22
	s_cbranch_execnz .LBB7_471
.LBB7_407:
	s_or_b32 exec_lo, exec_lo, s0
	s_and_saveexec_b32 s0, s23
	s_cbranch_execnz .LBB7_472
.LBB7_408:
	s_or_b32 exec_lo, exec_lo, s0
	s_and_saveexec_b32 s0, s24
	s_cbranch_execnz .LBB7_473
.LBB7_409:
	s_or_b32 exec_lo, exec_lo, s0
	s_and_saveexec_b32 s0, s25
	s_cbranch_execnz .LBB7_474
.LBB7_410:
	s_or_b32 exec_lo, exec_lo, s0
	s_and_saveexec_b32 s0, s26
	s_cbranch_execnz .LBB7_475
.LBB7_411:
	s_or_b32 exec_lo, exec_lo, s0
	s_and_saveexec_b32 s0, s27
	s_cbranch_execnz .LBB7_476
.LBB7_412:
	s_or_b32 exec_lo, exec_lo, s0
	s_and_saveexec_b32 s0, s28
	s_cbranch_execnz .LBB7_477
.LBB7_413:
	s_or_b32 exec_lo, exec_lo, s0
	s_and_saveexec_b32 s0, s29
	s_cbranch_execnz .LBB7_478
.LBB7_414:
	s_or_b32 exec_lo, exec_lo, s0
	s_and_saveexec_b32 s0, s30
	s_cbranch_execnz .LBB7_479
.LBB7_415:
	s_or_b32 exec_lo, exec_lo, s0
	s_and_saveexec_b32 s0, s31
	s_cbranch_execnz .LBB7_480
.LBB7_416:
	s_or_b32 exec_lo, exec_lo, s0
	s_and_saveexec_b32 s0, s33
	s_cbranch_execnz .LBB7_481
.LBB7_417:
	s_or_b32 exec_lo, exec_lo, s0
	s_and_saveexec_b32 s0, s34
	s_cbranch_execnz .LBB7_482
.LBB7_418:
	s_or_b32 exec_lo, exec_lo, s0
	s_and_saveexec_b32 s0, s35
	s_cbranch_execnz .LBB7_483
.LBB7_419:
	s_or_b32 exec_lo, exec_lo, s0
	s_and_saveexec_b32 s0, s36
	s_cbranch_execnz .LBB7_484
.LBB7_420:
	s_or_b32 exec_lo, exec_lo, s0
	s_and_saveexec_b32 s0, s37
	s_cbranch_execnz .LBB7_485
.LBB7_421:
	s_or_b32 exec_lo, exec_lo, s0
	s_and_saveexec_b32 s0, s38
	s_cbranch_execnz .LBB7_486
.LBB7_422:
	s_or_b32 exec_lo, exec_lo, s0
	s_and_saveexec_b32 s0, s39
	s_cbranch_execnz .LBB7_487
.LBB7_423:
	s_or_b32 exec_lo, exec_lo, s0
	s_and_saveexec_b32 s0, s40
	s_cbranch_execnz .LBB7_488
.LBB7_424:
	s_or_b32 exec_lo, exec_lo, s0
	s_and_saveexec_b32 s0, s41
	s_cbranch_execnz .LBB7_489
.LBB7_425:
	s_or_b32 exec_lo, exec_lo, s0
	s_and_saveexec_b32 s0, s42
	s_cbranch_execnz .LBB7_490
.LBB7_426:
	s_or_b32 exec_lo, exec_lo, s0
	s_and_saveexec_b32 s0, s43
	s_cbranch_execnz .LBB7_491
.LBB7_427:
	s_or_b32 exec_lo, exec_lo, s0
	s_and_saveexec_b32 s0, s44
	s_cbranch_execnz .LBB7_492
.LBB7_428:
	s_or_b32 exec_lo, exec_lo, s0
	s_and_saveexec_b32 s0, s45
	s_cbranch_execnz .LBB7_493
.LBB7_429:
	s_or_b32 exec_lo, exec_lo, s0
	s_and_saveexec_b32 s0, s46
	s_cbranch_execnz .LBB7_494
.LBB7_430:
	s_or_b32 exec_lo, exec_lo, s0
	s_and_saveexec_b32 s0, s47
	s_cbranch_execnz .LBB7_495
.LBB7_431:
	s_or_b32 exec_lo, exec_lo, s0
	s_and_saveexec_b32 s0, s48
	s_cbranch_execnz .LBB7_496
.LBB7_432:
	s_or_b32 exec_lo, exec_lo, s0
	s_and_saveexec_b32 s0, s49
	s_cbranch_execnz .LBB7_497
.LBB7_433:
	s_or_b32 exec_lo, exec_lo, s0
	s_and_saveexec_b32 s0, s50
	s_cbranch_execnz .LBB7_498
.LBB7_434:
	s_or_b32 exec_lo, exec_lo, s0
	s_and_saveexec_b32 s0, s51
	s_cbranch_execnz .LBB7_499
.LBB7_435:
	s_or_b32 exec_lo, exec_lo, s0
	s_and_saveexec_b32 s0, s52
	s_cbranch_execnz .LBB7_500
.LBB7_436:
	s_or_b32 exec_lo, exec_lo, s0
	s_and_saveexec_b32 s0, s53
	s_cbranch_execnz .LBB7_501
.LBB7_437:
	s_or_b32 exec_lo, exec_lo, s0
	s_and_saveexec_b32 s0, s54
	s_cbranch_execnz .LBB7_502
.LBB7_438:
	s_or_b32 exec_lo, exec_lo, s0
	s_and_saveexec_b32 s0, s55
	s_cbranch_execnz .LBB7_503
.LBB7_439:
	s_or_b32 exec_lo, exec_lo, s0
	s_and_saveexec_b32 s0, s56
	s_cbranch_execnz .LBB7_504
.LBB7_440:
	s_or_b32 exec_lo, exec_lo, s0
	s_and_saveexec_b32 s0, s57
	s_cbranch_execnz .LBB7_505
.LBB7_441:
	s_or_b32 exec_lo, exec_lo, s0
	s_and_saveexec_b32 s0, s58
	s_cbranch_execnz .LBB7_506
.LBB7_442:
	s_or_b32 exec_lo, exec_lo, s0
	s_and_saveexec_b32 s0, s59
	s_cbranch_execnz .LBB7_507
.LBB7_443:
	s_or_b32 exec_lo, exec_lo, s0
	s_and_saveexec_b32 s0, s60
	s_cbranch_execnz .LBB7_508
.LBB7_444:
	s_or_b32 exec_lo, exec_lo, s0
	s_and_saveexec_b32 s0, s61
	s_cbranch_execnz .LBB7_509
.LBB7_445:
	s_or_b32 exec_lo, exec_lo, s0
	s_and_saveexec_b32 s0, s62
	s_cbranch_execnz .LBB7_510
.LBB7_446:
	s_or_b32 exec_lo, exec_lo, s0
	s_and_saveexec_b32 s0, s63
	s_cbranch_execnz .LBB7_511
.LBB7_447:
	s_or_b32 exec_lo, exec_lo, s0
	s_and_saveexec_b32 s0, s64
	s_cbranch_execnz .LBB7_512
.LBB7_448:
	s_or_b32 exec_lo, exec_lo, s0
	s_and_b32 exec_lo, exec_lo, s4
	s_cbranch_execz .LBB7_450
.LBB7_449:
	buffer_load_dword v2, off, s[80:83], 0 offset:44 ; 4-byte Folded Reload
	v_add_co_u32 v0, vcc_lo, 0xf800, v0
	v_add_co_ci_u32_e64 v1, null, 0, v1, vcc_lo
	s_waitcnt vmcnt(0)
	global_store_dword v[0:1], v2, off offset:1024
.LBB7_450:
	s_endpgm
.LBB7_451:
	buffer_load_dword v2, off, s[80:83], 0 offset:292 ; 4-byte Folded Reload
	s_waitcnt vmcnt(0)
	global_store_dword v[0:1], v2, off offset:1024
	s_or_b32 exec_lo, exec_lo, s5
	s_and_saveexec_b32 s0, s1
	s_cbranch_execz .LBB7_388
.LBB7_452:
	buffer_load_dword v4, off, s[80:83], 0 offset:288 ; 4-byte Folded Reload
	v_add_co_u32 v2, vcc_lo, 0x800, v0
	v_add_co_ci_u32_e64 v3, null, 0, v1, vcc_lo
	s_waitcnt vmcnt(0)
	global_store_dword v[2:3], v4, off
	s_or_b32 exec_lo, exec_lo, s0
	s_and_saveexec_b32 s0, s2
	s_cbranch_execz .LBB7_389
.LBB7_453:
	buffer_load_dword v4, off, s[80:83], 0 offset:284 ; 4-byte Folded Reload
	v_add_co_u32 v2, vcc_lo, 0x800, v0
	v_add_co_ci_u32_e64 v3, null, 0, v1, vcc_lo
	s_waitcnt vmcnt(0)
	global_store_dword v[2:3], v4, off offset:1024
	s_or_b32 exec_lo, exec_lo, s0
	s_and_saveexec_b32 s0, s3
	s_cbranch_execz .LBB7_390
.LBB7_454:
	s_clause 0x2
	buffer_load_dword v2, off, s[80:83], 0 offset:296
	buffer_load_dword v3, off, s[80:83], 0 offset:300
	;; [unrolled: 1-line block ×3, first 2 shown]
	s_waitcnt vmcnt(1)
	v_lshlrev_b64 v[2:3], 2, v[2:3]
	v_add_co_u32 v2, vcc_lo, s66, v2
	v_add_co_ci_u32_e64 v3, null, s67, v3, vcc_lo
	s_waitcnt vmcnt(0)
	global_store_dword v[2:3], v4, off
	s_or_b32 exec_lo, exec_lo, s0
	s_and_saveexec_b32 s0, s6
	s_cbranch_execz .LBB7_391
.LBB7_455:
	buffer_load_dword v4, off, s[80:83], 0 offset:276 ; 4-byte Folded Reload
	v_add_co_u32 v2, vcc_lo, 0x1000, v0
	v_add_co_ci_u32_e64 v3, null, 0, v1, vcc_lo
	s_waitcnt vmcnt(0)
	global_store_dword v[2:3], v4, off offset:1024
	s_or_b32 exec_lo, exec_lo, s0
	s_and_saveexec_b32 s0, s7
	s_cbranch_execz .LBB7_392
.LBB7_456:
	buffer_load_dword v4, off, s[80:83], 0 offset:272 ; 4-byte Folded Reload
	v_add_co_u32 v2, vcc_lo, 0x1800, v0
	v_add_co_ci_u32_e64 v3, null, 0, v1, vcc_lo
	s_waitcnt vmcnt(0)
	global_store_dword v[2:3], v4, off
	s_or_b32 exec_lo, exec_lo, s0
	s_and_saveexec_b32 s0, s8
	s_cbranch_execz .LBB7_393
.LBB7_457:
	buffer_load_dword v4, off, s[80:83], 0 offset:268 ; 4-byte Folded Reload
	v_add_co_u32 v2, vcc_lo, 0x1800, v0
	v_add_co_ci_u32_e64 v3, null, 0, v1, vcc_lo
	s_waitcnt vmcnt(0)
	global_store_dword v[2:3], v4, off offset:1024
	s_or_b32 exec_lo, exec_lo, s0
	s_and_saveexec_b32 s0, s9
	s_cbranch_execz .LBB7_394
.LBB7_458:
	s_clause 0x2
	buffer_load_dword v2, off, s[80:83], 0 offset:304
	buffer_load_dword v3, off, s[80:83], 0 offset:308
	;; [unrolled: 1-line block ×3, first 2 shown]
	s_waitcnt vmcnt(1)
	v_lshlrev_b64 v[2:3], 2, v[2:3]
	v_add_co_u32 v2, vcc_lo, s66, v2
	v_add_co_ci_u32_e64 v3, null, s67, v3, vcc_lo
	s_waitcnt vmcnt(0)
	global_store_dword v[2:3], v4, off
	s_or_b32 exec_lo, exec_lo, s0
	s_and_saveexec_b32 s0, s10
	s_cbranch_execz .LBB7_395
.LBB7_459:
	buffer_load_dword v4, off, s[80:83], 0 offset:260 ; 4-byte Folded Reload
	v_add_co_u32 v2, vcc_lo, 0x2000, v0
	v_add_co_ci_u32_e64 v3, null, 0, v1, vcc_lo
	s_waitcnt vmcnt(0)
	global_store_dword v[2:3], v4, off offset:1024
	s_or_b32 exec_lo, exec_lo, s0
	s_and_saveexec_b32 s0, s11
	s_cbranch_execz .LBB7_396
.LBB7_460:
	buffer_load_dword v4, off, s[80:83], 0 offset:256 ; 4-byte Folded Reload
	v_add_co_u32 v2, vcc_lo, 0x2800, v0
	v_add_co_ci_u32_e64 v3, null, 0, v1, vcc_lo
	s_waitcnt vmcnt(0)
	global_store_dword v[2:3], v4, off
	s_or_b32 exec_lo, exec_lo, s0
	s_and_saveexec_b32 s0, s12
	s_cbranch_execz .LBB7_397
.LBB7_461:
	buffer_load_dword v4, off, s[80:83], 0 offset:252 ; 4-byte Folded Reload
	v_add_co_u32 v2, vcc_lo, 0x2800, v0
	v_add_co_ci_u32_e64 v3, null, 0, v1, vcc_lo
	s_waitcnt vmcnt(0)
	global_store_dword v[2:3], v4, off offset:1024
	s_or_b32 exec_lo, exec_lo, s0
	s_and_saveexec_b32 s0, s13
	s_cbranch_execz .LBB7_398
.LBB7_462:
	s_clause 0x2
	buffer_load_dword v2, off, s[80:83], 0 offset:312
	buffer_load_dword v3, off, s[80:83], 0 offset:316
	;; [unrolled: 1-line block ×3, first 2 shown]
	s_waitcnt vmcnt(1)
	v_lshlrev_b64 v[2:3], 2, v[2:3]
	v_add_co_u32 v2, vcc_lo, s66, v2
	v_add_co_ci_u32_e64 v3, null, s67, v3, vcc_lo
	s_waitcnt vmcnt(0)
	global_store_dword v[2:3], v4, off
	s_or_b32 exec_lo, exec_lo, s0
	s_and_saveexec_b32 s0, s14
	s_cbranch_execz .LBB7_399
.LBB7_463:
	buffer_load_dword v4, off, s[80:83], 0 offset:244 ; 4-byte Folded Reload
	v_add_co_u32 v2, vcc_lo, 0x3000, v0
	v_add_co_ci_u32_e64 v3, null, 0, v1, vcc_lo
	s_waitcnt vmcnt(0)
	global_store_dword v[2:3], v4, off offset:1024
	s_or_b32 exec_lo, exec_lo, s0
	s_and_saveexec_b32 s0, s15
	s_cbranch_execz .LBB7_400
.LBB7_464:
	buffer_load_dword v4, off, s[80:83], 0 offset:240 ; 4-byte Folded Reload
	v_add_co_u32 v2, vcc_lo, 0x3800, v0
	v_add_co_ci_u32_e64 v3, null, 0, v1, vcc_lo
	s_waitcnt vmcnt(0)
	global_store_dword v[2:3], v4, off
	s_or_b32 exec_lo, exec_lo, s0
	s_and_saveexec_b32 s0, s16
	s_cbranch_execz .LBB7_401
.LBB7_465:
	buffer_load_dword v4, off, s[80:83], 0 offset:236 ; 4-byte Folded Reload
	v_add_co_u32 v2, vcc_lo, 0x3800, v0
	v_add_co_ci_u32_e64 v3, null, 0, v1, vcc_lo
	s_waitcnt vmcnt(0)
	global_store_dword v[2:3], v4, off offset:1024
	s_or_b32 exec_lo, exec_lo, s0
	s_and_saveexec_b32 s0, s17
	s_cbranch_execz .LBB7_402
.LBB7_466:
	s_clause 0x2
	buffer_load_dword v2, off, s[80:83], 0 offset:320
	buffer_load_dword v3, off, s[80:83], 0 offset:324
	;; [unrolled: 1-line block ×3, first 2 shown]
	s_waitcnt vmcnt(1)
	v_lshlrev_b64 v[2:3], 2, v[2:3]
	v_add_co_u32 v2, vcc_lo, s66, v2
	v_add_co_ci_u32_e64 v3, null, s67, v3, vcc_lo
	s_waitcnt vmcnt(0)
	global_store_dword v[2:3], v4, off
	s_or_b32 exec_lo, exec_lo, s0
	s_and_saveexec_b32 s0, s18
	s_cbranch_execz .LBB7_403
.LBB7_467:
	buffer_load_dword v4, off, s[80:83], 0 offset:228 ; 4-byte Folded Reload
	v_add_co_u32 v2, vcc_lo, 0x4000, v0
	v_add_co_ci_u32_e64 v3, null, 0, v1, vcc_lo
	s_waitcnt vmcnt(0)
	global_store_dword v[2:3], v4, off offset:1024
	s_or_b32 exec_lo, exec_lo, s0
	s_and_saveexec_b32 s0, s19
	s_cbranch_execz .LBB7_404
.LBB7_468:
	buffer_load_dword v4, off, s[80:83], 0 offset:224 ; 4-byte Folded Reload
	v_add_co_u32 v2, vcc_lo, 0x4800, v0
	v_add_co_ci_u32_e64 v3, null, 0, v1, vcc_lo
	s_waitcnt vmcnt(0)
	global_store_dword v[2:3], v4, off
	s_or_b32 exec_lo, exec_lo, s0
	s_and_saveexec_b32 s0, s20
	s_cbranch_execz .LBB7_405
.LBB7_469:
	buffer_load_dword v4, off, s[80:83], 0 offset:220 ; 4-byte Folded Reload
	v_add_co_u32 v2, vcc_lo, 0x4800, v0
	v_add_co_ci_u32_e64 v3, null, 0, v1, vcc_lo
	s_waitcnt vmcnt(0)
	global_store_dword v[2:3], v4, off offset:1024
	s_or_b32 exec_lo, exec_lo, s0
	s_and_saveexec_b32 s0, s21
	s_cbranch_execz .LBB7_406
.LBB7_470:
	s_clause 0x2
	buffer_load_dword v2, off, s[80:83], 0 offset:328
	buffer_load_dword v3, off, s[80:83], 0 offset:332
	;; [unrolled: 1-line block ×3, first 2 shown]
	s_waitcnt vmcnt(1)
	v_lshlrev_b64 v[2:3], 2, v[2:3]
	v_add_co_u32 v2, vcc_lo, s66, v2
	v_add_co_ci_u32_e64 v3, null, s67, v3, vcc_lo
	s_waitcnt vmcnt(0)
	global_store_dword v[2:3], v4, off
	s_or_b32 exec_lo, exec_lo, s0
	s_and_saveexec_b32 s0, s22
	s_cbranch_execz .LBB7_407
.LBB7_471:
	buffer_load_dword v4, off, s[80:83], 0 offset:212 ; 4-byte Folded Reload
	v_add_co_u32 v2, vcc_lo, 0x5000, v0
	v_add_co_ci_u32_e64 v3, null, 0, v1, vcc_lo
	s_waitcnt vmcnt(0)
	global_store_dword v[2:3], v4, off offset:1024
	s_or_b32 exec_lo, exec_lo, s0
	s_and_saveexec_b32 s0, s23
	s_cbranch_execz .LBB7_408
.LBB7_472:
	buffer_load_dword v4, off, s[80:83], 0 offset:208 ; 4-byte Folded Reload
	v_add_co_u32 v2, vcc_lo, 0x5800, v0
	v_add_co_ci_u32_e64 v3, null, 0, v1, vcc_lo
	s_waitcnt vmcnt(0)
	global_store_dword v[2:3], v4, off
	s_or_b32 exec_lo, exec_lo, s0
	s_and_saveexec_b32 s0, s24
	s_cbranch_execz .LBB7_409
.LBB7_473:
	buffer_load_dword v4, off, s[80:83], 0 offset:204 ; 4-byte Folded Reload
	v_add_co_u32 v2, vcc_lo, 0x5800, v0
	v_add_co_ci_u32_e64 v3, null, 0, v1, vcc_lo
	s_waitcnt vmcnt(0)
	global_store_dword v[2:3], v4, off offset:1024
	s_or_b32 exec_lo, exec_lo, s0
	s_and_saveexec_b32 s0, s25
	s_cbranch_execz .LBB7_410
.LBB7_474:
	s_clause 0x2
	buffer_load_dword v2, off, s[80:83], 0 offset:336
	buffer_load_dword v3, off, s[80:83], 0 offset:340
	;; [unrolled: 1-line block ×3, first 2 shown]
	s_waitcnt vmcnt(1)
	v_lshlrev_b64 v[2:3], 2, v[2:3]
	v_add_co_u32 v2, vcc_lo, s66, v2
	v_add_co_ci_u32_e64 v3, null, s67, v3, vcc_lo
	s_waitcnt vmcnt(0)
	global_store_dword v[2:3], v4, off
	s_or_b32 exec_lo, exec_lo, s0
	s_and_saveexec_b32 s0, s26
	s_cbranch_execz .LBB7_411
.LBB7_475:
	buffer_load_dword v4, off, s[80:83], 0 offset:196 ; 4-byte Folded Reload
	v_add_co_u32 v2, vcc_lo, 0x6000, v0
	v_add_co_ci_u32_e64 v3, null, 0, v1, vcc_lo
	s_waitcnt vmcnt(0)
	global_store_dword v[2:3], v4, off offset:1024
	s_or_b32 exec_lo, exec_lo, s0
	s_and_saveexec_b32 s0, s27
	s_cbranch_execz .LBB7_412
.LBB7_476:
	buffer_load_dword v4, off, s[80:83], 0 offset:192 ; 4-byte Folded Reload
	v_add_co_u32 v2, vcc_lo, 0x6800, v0
	v_add_co_ci_u32_e64 v3, null, 0, v1, vcc_lo
	s_waitcnt vmcnt(0)
	global_store_dword v[2:3], v4, off
	s_or_b32 exec_lo, exec_lo, s0
	s_and_saveexec_b32 s0, s28
	s_cbranch_execz .LBB7_413
.LBB7_477:
	buffer_load_dword v4, off, s[80:83], 0 offset:188 ; 4-byte Folded Reload
	v_add_co_u32 v2, vcc_lo, 0x6800, v0
	v_add_co_ci_u32_e64 v3, null, 0, v1, vcc_lo
	s_waitcnt vmcnt(0)
	global_store_dword v[2:3], v4, off offset:1024
	s_or_b32 exec_lo, exec_lo, s0
	s_and_saveexec_b32 s0, s29
	s_cbranch_execz .LBB7_414
.LBB7_478:
	s_clause 0x2
	buffer_load_dword v2, off, s[80:83], 0 offset:344
	buffer_load_dword v3, off, s[80:83], 0 offset:348
	;; [unrolled: 1-line block ×3, first 2 shown]
	s_waitcnt vmcnt(1)
	v_lshlrev_b64 v[2:3], 2, v[2:3]
	v_add_co_u32 v2, vcc_lo, s66, v2
	v_add_co_ci_u32_e64 v3, null, s67, v3, vcc_lo
	s_waitcnt vmcnt(0)
	global_store_dword v[2:3], v4, off
	s_or_b32 exec_lo, exec_lo, s0
	s_and_saveexec_b32 s0, s30
	s_cbranch_execz .LBB7_415
.LBB7_479:
	buffer_load_dword v4, off, s[80:83], 0 offset:180 ; 4-byte Folded Reload
	v_add_co_u32 v2, vcc_lo, 0x7000, v0
	v_add_co_ci_u32_e64 v3, null, 0, v1, vcc_lo
	s_waitcnt vmcnt(0)
	global_store_dword v[2:3], v4, off offset:1024
	s_or_b32 exec_lo, exec_lo, s0
	s_and_saveexec_b32 s0, s31
	s_cbranch_execz .LBB7_416
.LBB7_480:
	buffer_load_dword v4, off, s[80:83], 0 offset:176 ; 4-byte Folded Reload
	v_add_co_u32 v2, vcc_lo, 0x7800, v0
	v_add_co_ci_u32_e64 v3, null, 0, v1, vcc_lo
	s_waitcnt vmcnt(0)
	global_store_dword v[2:3], v4, off
	s_or_b32 exec_lo, exec_lo, s0
	s_and_saveexec_b32 s0, s33
	s_cbranch_execz .LBB7_417
.LBB7_481:
	buffer_load_dword v4, off, s[80:83], 0 offset:172 ; 4-byte Folded Reload
	v_add_co_u32 v2, vcc_lo, 0x7800, v0
	v_add_co_ci_u32_e64 v3, null, 0, v1, vcc_lo
	s_waitcnt vmcnt(0)
	global_store_dword v[2:3], v4, off offset:1024
	s_or_b32 exec_lo, exec_lo, s0
	s_and_saveexec_b32 s0, s34
	s_cbranch_execz .LBB7_418
.LBB7_482:
	s_clause 0x2
	buffer_load_dword v2, off, s[80:83], 0 offset:352
	buffer_load_dword v3, off, s[80:83], 0 offset:356
	;; [unrolled: 1-line block ×3, first 2 shown]
	s_waitcnt vmcnt(1)
	v_lshlrev_b64 v[2:3], 2, v[2:3]
	v_add_co_u32 v2, vcc_lo, s66, v2
	v_add_co_ci_u32_e64 v3, null, s67, v3, vcc_lo
	s_waitcnt vmcnt(0)
	global_store_dword v[2:3], v4, off
	s_or_b32 exec_lo, exec_lo, s0
	s_and_saveexec_b32 s0, s35
	s_cbranch_execz .LBB7_419
.LBB7_483:
	buffer_load_dword v4, off, s[80:83], 0 offset:164 ; 4-byte Folded Reload
	v_add_co_u32 v2, vcc_lo, 0x8000, v0
	v_add_co_ci_u32_e64 v3, null, 0, v1, vcc_lo
	s_waitcnt vmcnt(0)
	global_store_dword v[2:3], v4, off offset:1024
	s_or_b32 exec_lo, exec_lo, s0
	s_and_saveexec_b32 s0, s36
	s_cbranch_execz .LBB7_420
.LBB7_484:
	buffer_load_dword v4, off, s[80:83], 0 offset:160 ; 4-byte Folded Reload
	v_add_co_u32 v2, vcc_lo, 0x8800, v0
	v_add_co_ci_u32_e64 v3, null, 0, v1, vcc_lo
	s_waitcnt vmcnt(0)
	global_store_dword v[2:3], v4, off
	s_or_b32 exec_lo, exec_lo, s0
	s_and_saveexec_b32 s0, s37
	s_cbranch_execz .LBB7_421
.LBB7_485:
	buffer_load_dword v4, off, s[80:83], 0 offset:156 ; 4-byte Folded Reload
	v_add_co_u32 v2, vcc_lo, 0x8800, v0
	v_add_co_ci_u32_e64 v3, null, 0, v1, vcc_lo
	s_waitcnt vmcnt(0)
	global_store_dword v[2:3], v4, off offset:1024
	s_or_b32 exec_lo, exec_lo, s0
	s_and_saveexec_b32 s0, s38
	s_cbranch_execz .LBB7_422
.LBB7_486:
	s_clause 0x2
	buffer_load_dword v2, off, s[80:83], 0 offset:360
	buffer_load_dword v3, off, s[80:83], 0 offset:364
	;; [unrolled: 1-line block ×3, first 2 shown]
	s_waitcnt vmcnt(1)
	v_lshlrev_b64 v[2:3], 2, v[2:3]
	v_add_co_u32 v2, vcc_lo, s66, v2
	v_add_co_ci_u32_e64 v3, null, s67, v3, vcc_lo
	s_waitcnt vmcnt(0)
	global_store_dword v[2:3], v4, off
	s_or_b32 exec_lo, exec_lo, s0
	s_and_saveexec_b32 s0, s39
	s_cbranch_execz .LBB7_423
.LBB7_487:
	buffer_load_dword v4, off, s[80:83], 0 offset:148 ; 4-byte Folded Reload
	v_add_co_u32 v2, vcc_lo, 0x9000, v0
	v_add_co_ci_u32_e64 v3, null, 0, v1, vcc_lo
	s_waitcnt vmcnt(0)
	global_store_dword v[2:3], v4, off offset:1024
	s_or_b32 exec_lo, exec_lo, s0
	s_and_saveexec_b32 s0, s40
	s_cbranch_execz .LBB7_424
.LBB7_488:
	buffer_load_dword v4, off, s[80:83], 0 offset:144 ; 4-byte Folded Reload
	v_add_co_u32 v2, vcc_lo, 0x9800, v0
	v_add_co_ci_u32_e64 v3, null, 0, v1, vcc_lo
	s_waitcnt vmcnt(0)
	global_store_dword v[2:3], v4, off
	s_or_b32 exec_lo, exec_lo, s0
	s_and_saveexec_b32 s0, s41
	s_cbranch_execz .LBB7_425
.LBB7_489:
	buffer_load_dword v4, off, s[80:83], 0 offset:140 ; 4-byte Folded Reload
	v_add_co_u32 v2, vcc_lo, 0x9800, v0
	v_add_co_ci_u32_e64 v3, null, 0, v1, vcc_lo
	s_waitcnt vmcnt(0)
	global_store_dword v[2:3], v4, off offset:1024
	s_or_b32 exec_lo, exec_lo, s0
	s_and_saveexec_b32 s0, s42
	s_cbranch_execz .LBB7_426
.LBB7_490:
	s_clause 0x2
	buffer_load_dword v2, off, s[80:83], 0 offset:368
	buffer_load_dword v3, off, s[80:83], 0 offset:372
	;; [unrolled: 1-line block ×3, first 2 shown]
	s_waitcnt vmcnt(1)
	v_lshlrev_b64 v[2:3], 2, v[2:3]
	v_add_co_u32 v2, vcc_lo, s66, v2
	v_add_co_ci_u32_e64 v3, null, s67, v3, vcc_lo
	s_waitcnt vmcnt(0)
	global_store_dword v[2:3], v4, off
	s_or_b32 exec_lo, exec_lo, s0
	s_and_saveexec_b32 s0, s43
	s_cbranch_execz .LBB7_427
.LBB7_491:
	buffer_load_dword v4, off, s[80:83], 0 offset:132 ; 4-byte Folded Reload
	v_add_co_u32 v2, vcc_lo, 0xa000, v0
	v_add_co_ci_u32_e64 v3, null, 0, v1, vcc_lo
	s_waitcnt vmcnt(0)
	global_store_dword v[2:3], v4, off offset:1024
	s_or_b32 exec_lo, exec_lo, s0
	s_and_saveexec_b32 s0, s44
	s_cbranch_execz .LBB7_428
.LBB7_492:
	buffer_load_dword v4, off, s[80:83], 0 offset:128 ; 4-byte Folded Reload
	v_add_co_u32 v2, vcc_lo, 0xa800, v0
	v_add_co_ci_u32_e64 v3, null, 0, v1, vcc_lo
	s_waitcnt vmcnt(0)
	global_store_dword v[2:3], v4, off
	s_or_b32 exec_lo, exec_lo, s0
	s_and_saveexec_b32 s0, s45
	s_cbranch_execz .LBB7_429
.LBB7_493:
	buffer_load_dword v4, off, s[80:83], 0 offset:124 ; 4-byte Folded Reload
	v_add_co_u32 v2, vcc_lo, 0xa800, v0
	v_add_co_ci_u32_e64 v3, null, 0, v1, vcc_lo
	s_waitcnt vmcnt(0)
	global_store_dword v[2:3], v4, off offset:1024
	s_or_b32 exec_lo, exec_lo, s0
	s_and_saveexec_b32 s0, s46
	s_cbranch_execz .LBB7_430
.LBB7_494:
	s_clause 0x2
	buffer_load_dword v2, off, s[80:83], 0 offset:376
	buffer_load_dword v3, off, s[80:83], 0 offset:380
	;; [unrolled: 1-line block ×3, first 2 shown]
	s_waitcnt vmcnt(1)
	v_lshlrev_b64 v[2:3], 2, v[2:3]
	v_add_co_u32 v2, vcc_lo, s66, v2
	v_add_co_ci_u32_e64 v3, null, s67, v3, vcc_lo
	s_waitcnt vmcnt(0)
	global_store_dword v[2:3], v4, off
	s_or_b32 exec_lo, exec_lo, s0
	s_and_saveexec_b32 s0, s47
	s_cbranch_execz .LBB7_431
.LBB7_495:
	buffer_load_dword v4, off, s[80:83], 0 offset:116 ; 4-byte Folded Reload
	v_add_co_u32 v2, vcc_lo, 0xb000, v0
	v_add_co_ci_u32_e64 v3, null, 0, v1, vcc_lo
	s_waitcnt vmcnt(0)
	global_store_dword v[2:3], v4, off offset:1024
	s_or_b32 exec_lo, exec_lo, s0
	s_and_saveexec_b32 s0, s48
	s_cbranch_execz .LBB7_432
.LBB7_496:
	buffer_load_dword v4, off, s[80:83], 0 offset:112 ; 4-byte Folded Reload
	v_add_co_u32 v2, vcc_lo, 0xb800, v0
	v_add_co_ci_u32_e64 v3, null, 0, v1, vcc_lo
	s_waitcnt vmcnt(0)
	global_store_dword v[2:3], v4, off
	s_or_b32 exec_lo, exec_lo, s0
	s_and_saveexec_b32 s0, s49
	s_cbranch_execz .LBB7_433
.LBB7_497:
	buffer_load_dword v4, off, s[80:83], 0 offset:108 ; 4-byte Folded Reload
	v_add_co_u32 v2, vcc_lo, 0xb800, v0
	v_add_co_ci_u32_e64 v3, null, 0, v1, vcc_lo
	s_waitcnt vmcnt(0)
	global_store_dword v[2:3], v4, off offset:1024
	s_or_b32 exec_lo, exec_lo, s0
	s_and_saveexec_b32 s0, s50
	s_cbranch_execz .LBB7_434
.LBB7_498:
	s_clause 0x2
	buffer_load_dword v2, off, s[80:83], 0 offset:384
	buffer_load_dword v3, off, s[80:83], 0 offset:388
	;; [unrolled: 1-line block ×3, first 2 shown]
	s_waitcnt vmcnt(1)
	v_lshlrev_b64 v[2:3], 2, v[2:3]
	v_add_co_u32 v2, vcc_lo, s66, v2
	v_add_co_ci_u32_e64 v3, null, s67, v3, vcc_lo
	s_waitcnt vmcnt(0)
	global_store_dword v[2:3], v4, off
	s_or_b32 exec_lo, exec_lo, s0
	s_and_saveexec_b32 s0, s51
	s_cbranch_execz .LBB7_435
.LBB7_499:
	buffer_load_dword v4, off, s[80:83], 0 offset:100 ; 4-byte Folded Reload
	v_add_co_u32 v2, vcc_lo, 0xc000, v0
	v_add_co_ci_u32_e64 v3, null, 0, v1, vcc_lo
	s_waitcnt vmcnt(0)
	global_store_dword v[2:3], v4, off offset:1024
	s_or_b32 exec_lo, exec_lo, s0
	s_and_saveexec_b32 s0, s52
	s_cbranch_execz .LBB7_436
.LBB7_500:
	buffer_load_dword v4, off, s[80:83], 0 offset:96 ; 4-byte Folded Reload
	v_add_co_u32 v2, vcc_lo, 0xc800, v0
	v_add_co_ci_u32_e64 v3, null, 0, v1, vcc_lo
	s_waitcnt vmcnt(0)
	global_store_dword v[2:3], v4, off
	s_or_b32 exec_lo, exec_lo, s0
	s_and_saveexec_b32 s0, s53
	s_cbranch_execz .LBB7_437
.LBB7_501:
	buffer_load_dword v4, off, s[80:83], 0 offset:92 ; 4-byte Folded Reload
	v_add_co_u32 v2, vcc_lo, 0xc800, v0
	v_add_co_ci_u32_e64 v3, null, 0, v1, vcc_lo
	s_waitcnt vmcnt(0)
	global_store_dword v[2:3], v4, off offset:1024
	s_or_b32 exec_lo, exec_lo, s0
	s_and_saveexec_b32 s0, s54
	s_cbranch_execz .LBB7_438
.LBB7_502:
	s_clause 0x2
	buffer_load_dword v2, off, s[80:83], 0 offset:392
	buffer_load_dword v3, off, s[80:83], 0 offset:396
	buffer_load_dword v4, off, s[80:83], 0 offset:88
	s_waitcnt vmcnt(1)
	v_lshlrev_b64 v[2:3], 2, v[2:3]
	v_add_co_u32 v2, vcc_lo, s66, v2
	v_add_co_ci_u32_e64 v3, null, s67, v3, vcc_lo
	s_waitcnt vmcnt(0)
	global_store_dword v[2:3], v4, off
	s_or_b32 exec_lo, exec_lo, s0
	s_and_saveexec_b32 s0, s55
	s_cbranch_execz .LBB7_439
.LBB7_503:
	buffer_load_dword v4, off, s[80:83], 0 offset:84 ; 4-byte Folded Reload
	v_add_co_u32 v2, vcc_lo, 0xd000, v0
	v_add_co_ci_u32_e64 v3, null, 0, v1, vcc_lo
	s_waitcnt vmcnt(0)
	global_store_dword v[2:3], v4, off offset:1024
	s_or_b32 exec_lo, exec_lo, s0
	s_and_saveexec_b32 s0, s56
	s_cbranch_execz .LBB7_440
.LBB7_504:
	buffer_load_dword v4, off, s[80:83], 0 offset:80 ; 4-byte Folded Reload
	v_add_co_u32 v2, vcc_lo, 0xd800, v0
	v_add_co_ci_u32_e64 v3, null, 0, v1, vcc_lo
	s_waitcnt vmcnt(0)
	global_store_dword v[2:3], v4, off
	s_or_b32 exec_lo, exec_lo, s0
	s_and_saveexec_b32 s0, s57
	s_cbranch_execz .LBB7_441
.LBB7_505:
	buffer_load_dword v4, off, s[80:83], 0 offset:76 ; 4-byte Folded Reload
	v_add_co_u32 v2, vcc_lo, 0xd800, v0
	v_add_co_ci_u32_e64 v3, null, 0, v1, vcc_lo
	s_waitcnt vmcnt(0)
	global_store_dword v[2:3], v4, off offset:1024
	s_or_b32 exec_lo, exec_lo, s0
	s_and_saveexec_b32 s0, s58
	s_cbranch_execz .LBB7_442
.LBB7_506:
	s_clause 0x2
	buffer_load_dword v2, off, s[80:83], 0 offset:400
	buffer_load_dword v3, off, s[80:83], 0 offset:404
	;; [unrolled: 1-line block ×3, first 2 shown]
	s_waitcnt vmcnt(1)
	v_lshlrev_b64 v[2:3], 2, v[2:3]
	v_add_co_u32 v2, vcc_lo, s66, v2
	v_add_co_ci_u32_e64 v3, null, s67, v3, vcc_lo
	s_waitcnt vmcnt(0)
	global_store_dword v[2:3], v4, off
	s_or_b32 exec_lo, exec_lo, s0
	s_and_saveexec_b32 s0, s59
	s_cbranch_execz .LBB7_443
.LBB7_507:
	buffer_load_dword v4, off, s[80:83], 0 offset:68 ; 4-byte Folded Reload
	v_add_co_u32 v2, vcc_lo, 0xe000, v0
	v_add_co_ci_u32_e64 v3, null, 0, v1, vcc_lo
	s_waitcnt vmcnt(0)
	global_store_dword v[2:3], v4, off offset:1024
	s_or_b32 exec_lo, exec_lo, s0
	s_and_saveexec_b32 s0, s60
	s_cbranch_execz .LBB7_444
.LBB7_508:
	buffer_load_dword v4, off, s[80:83], 0 offset:64 ; 4-byte Folded Reload
	v_add_co_u32 v2, vcc_lo, 0xe800, v0
	v_add_co_ci_u32_e64 v3, null, 0, v1, vcc_lo
	s_waitcnt vmcnt(0)
	global_store_dword v[2:3], v4, off
	s_or_b32 exec_lo, exec_lo, s0
	s_and_saveexec_b32 s0, s61
	s_cbranch_execz .LBB7_445
.LBB7_509:
	buffer_load_dword v4, off, s[80:83], 0 offset:60 ; 4-byte Folded Reload
	v_add_co_u32 v2, vcc_lo, 0xe800, v0
	v_add_co_ci_u32_e64 v3, null, 0, v1, vcc_lo
	s_waitcnt vmcnt(0)
	global_store_dword v[2:3], v4, off offset:1024
	s_or_b32 exec_lo, exec_lo, s0
	s_and_saveexec_b32 s0, s62
	s_cbranch_execz .LBB7_446
.LBB7_510:
	s_clause 0x2
	buffer_load_dword v2, off, s[80:83], 0 offset:408
	buffer_load_dword v3, off, s[80:83], 0 offset:412
	;; [unrolled: 1-line block ×3, first 2 shown]
	s_waitcnt vmcnt(1)
	v_lshlrev_b64 v[2:3], 2, v[2:3]
	v_add_co_u32 v2, vcc_lo, s66, v2
	v_add_co_ci_u32_e64 v3, null, s67, v3, vcc_lo
	s_waitcnt vmcnt(0)
	global_store_dword v[2:3], v4, off
	s_or_b32 exec_lo, exec_lo, s0
	s_and_saveexec_b32 s0, s63
	s_cbranch_execz .LBB7_447
.LBB7_511:
	buffer_load_dword v4, off, s[80:83], 0 offset:52 ; 4-byte Folded Reload
	v_add_co_u32 v2, vcc_lo, 0xf000, v0
	v_add_co_ci_u32_e64 v3, null, 0, v1, vcc_lo
	s_waitcnt vmcnt(0)
	global_store_dword v[2:3], v4, off offset:1024
	s_or_b32 exec_lo, exec_lo, s0
	s_and_saveexec_b32 s0, s64
	s_cbranch_execz .LBB7_448
.LBB7_512:
	buffer_load_dword v4, off, s[80:83], 0 offset:48 ; 4-byte Folded Reload
	v_add_co_u32 v2, vcc_lo, 0xf800, v0
	v_add_co_ci_u32_e64 v3, null, 0, v1, vcc_lo
	s_waitcnt vmcnt(0)
	global_store_dword v[2:3], v4, off
	s_or_b32 exec_lo, exec_lo, s0
	s_and_b32 exec_lo, exec_lo, s4
	s_cbranch_execnz .LBB7_449
	s_branch .LBB7_450
	.section	.rodata,"a",@progbits
	.p2align	6, 0x0
	.amdhsa_kernel _Z10pnpoly_optILi64EEvPiPK15HIP_vector_typeIfLj2EES4_i
		.amdhsa_group_segment_fixed_size 0
		.amdhsa_private_segment_fixed_size 420
		.amdhsa_kernarg_size 28
		.amdhsa_user_sgpr_count 6
		.amdhsa_user_sgpr_private_segment_buffer 1
		.amdhsa_user_sgpr_dispatch_ptr 0
		.amdhsa_user_sgpr_queue_ptr 0
		.amdhsa_user_sgpr_kernarg_segment_ptr 1
		.amdhsa_user_sgpr_dispatch_id 0
		.amdhsa_user_sgpr_flat_scratch_init 0
		.amdhsa_user_sgpr_private_segment_size 0
		.amdhsa_wavefront_size32 1
		.amdhsa_uses_dynamic_stack 0
		.amdhsa_system_sgpr_private_segment_wavefront_offset 1
		.amdhsa_system_sgpr_workgroup_id_x 1
		.amdhsa_system_sgpr_workgroup_id_y 0
		.amdhsa_system_sgpr_workgroup_id_z 0
		.amdhsa_system_sgpr_workgroup_info 0
		.amdhsa_system_vgpr_workitem_id 0
		.amdhsa_next_free_vgpr 128
		.amdhsa_next_free_sgpr 84
		.amdhsa_reserve_vcc 1
		.amdhsa_reserve_flat_scratch 0
		.amdhsa_float_round_mode_32 0
		.amdhsa_float_round_mode_16_64 0
		.amdhsa_float_denorm_mode_32 3
		.amdhsa_float_denorm_mode_16_64 3
		.amdhsa_dx10_clamp 1
		.amdhsa_ieee_mode 1
		.amdhsa_fp16_overflow 0
		.amdhsa_workgroup_processor_mode 1
		.amdhsa_memory_ordered 1
		.amdhsa_forward_progress 1
		.amdhsa_shared_vgpr_count 0
		.amdhsa_exception_fp_ieee_invalid_op 0
		.amdhsa_exception_fp_denorm_src 0
		.amdhsa_exception_fp_ieee_div_zero 0
		.amdhsa_exception_fp_ieee_overflow 0
		.amdhsa_exception_fp_ieee_underflow 0
		.amdhsa_exception_fp_ieee_inexact 0
		.amdhsa_exception_int_div_zero 0
	.end_amdhsa_kernel
	.section	.text._Z10pnpoly_optILi64EEvPiPK15HIP_vector_typeIfLj2EES4_i,"axG",@progbits,_Z10pnpoly_optILi64EEvPiPK15HIP_vector_typeIfLj2EES4_i,comdat
.Lfunc_end7:
	.size	_Z10pnpoly_optILi64EEvPiPK15HIP_vector_typeIfLj2EES4_i, .Lfunc_end7-_Z10pnpoly_optILi64EEvPiPK15HIP_vector_typeIfLj2EES4_i
                                        ; -- End function
	.set _Z10pnpoly_optILi64EEvPiPK15HIP_vector_typeIfLj2EES4_i.num_vgpr, 128
	.set _Z10pnpoly_optILi64EEvPiPK15HIP_vector_typeIfLj2EES4_i.num_agpr, 0
	.set _Z10pnpoly_optILi64EEvPiPK15HIP_vector_typeIfLj2EES4_i.numbered_sgpr, 84
	.set _Z10pnpoly_optILi64EEvPiPK15HIP_vector_typeIfLj2EES4_i.num_named_barrier, 0
	.set _Z10pnpoly_optILi64EEvPiPK15HIP_vector_typeIfLj2EES4_i.private_seg_size, 420
	.set _Z10pnpoly_optILi64EEvPiPK15HIP_vector_typeIfLj2EES4_i.uses_vcc, 1
	.set _Z10pnpoly_optILi64EEvPiPK15HIP_vector_typeIfLj2EES4_i.uses_flat_scratch, 0
	.set _Z10pnpoly_optILi64EEvPiPK15HIP_vector_typeIfLj2EES4_i.has_dyn_sized_stack, 0
	.set _Z10pnpoly_optILi64EEvPiPK15HIP_vector_typeIfLj2EES4_i.has_recursion, 0
	.set _Z10pnpoly_optILi64EEvPiPK15HIP_vector_typeIfLj2EES4_i.has_indirect_call, 0
	.section	.AMDGPU.csdata,"",@progbits
; Kernel info:
; codeLenInByte = 16012
; TotalNumSgprs: 86
; NumVgprs: 128
; ScratchSize: 420
; MemoryBound: 0
; FloatMode: 240
; IeeeMode: 1
; LDSByteSize: 0 bytes/workgroup (compile time only)
; SGPRBlocks: 0
; VGPRBlocks: 15
; NumSGPRsForWavesPerEU: 86
; NumVGPRsForWavesPerEU: 128
; Occupancy: 8
; WaveLimiterHint : 0
; COMPUTE_PGM_RSRC2:SCRATCH_EN: 1
; COMPUTE_PGM_RSRC2:USER_SGPR: 6
; COMPUTE_PGM_RSRC2:TRAP_HANDLER: 0
; COMPUTE_PGM_RSRC2:TGID_X_EN: 1
; COMPUTE_PGM_RSRC2:TGID_Y_EN: 0
; COMPUTE_PGM_RSRC2:TGID_Z_EN: 0
; COMPUTE_PGM_RSRC2:TIDIG_COMP_CNT: 0
	.text
	.p2alignl 6, 3214868480
	.fill 48, 4, 3214868480
	.section	.AMDGPU.gpr_maximums,"",@progbits
	.set amdgpu.max_num_vgpr, 0
	.set amdgpu.max_num_agpr, 0
	.set amdgpu.max_num_sgpr, 0
	.text
	.type	__hip_cuid_ebcb161423a130cf,@object ; @__hip_cuid_ebcb161423a130cf
	.section	.bss,"aw",@nobits
	.globl	__hip_cuid_ebcb161423a130cf
__hip_cuid_ebcb161423a130cf:
	.byte	0                               ; 0x0
	.size	__hip_cuid_ebcb161423a130cf, 1

	.ident	"AMD clang version 22.0.0git (https://github.com/RadeonOpenCompute/llvm-project roc-7.2.4 26084 f58b06dce1f9c15707c5f808fd002e18c2accf7e)"
	.section	".note.GNU-stack","",@progbits
	.addrsig
	.addrsig_sym __hip_cuid_ebcb161423a130cf
	.amdgpu_metadata
---
amdhsa.kernels:
  - .args:
      - .actual_access:  write_only
        .address_space:  global
        .offset:         0
        .size:           8
        .value_kind:     global_buffer
      - .actual_access:  read_only
        .address_space:  global
        .offset:         8
        .size:           8
        .value_kind:     global_buffer
      - .actual_access:  read_only
        .address_space:  global
        .offset:         16
        .size:           8
        .value_kind:     global_buffer
      - .offset:         24
        .size:           4
        .value_kind:     by_value
      - .offset:         32
        .size:           4
        .value_kind:     hidden_block_count_x
      - .offset:         36
        .size:           4
        .value_kind:     hidden_block_count_y
      - .offset:         40
        .size:           4
        .value_kind:     hidden_block_count_z
      - .offset:         44
        .size:           2
        .value_kind:     hidden_group_size_x
      - .offset:         46
        .size:           2
        .value_kind:     hidden_group_size_y
      - .offset:         48
        .size:           2
        .value_kind:     hidden_group_size_z
      - .offset:         50
        .size:           2
        .value_kind:     hidden_remainder_x
      - .offset:         52
        .size:           2
        .value_kind:     hidden_remainder_y
      - .offset:         54
        .size:           2
        .value_kind:     hidden_remainder_z
      - .offset:         72
        .size:           8
        .value_kind:     hidden_global_offset_x
      - .offset:         80
        .size:           8
        .value_kind:     hidden_global_offset_y
      - .offset:         88
        .size:           8
        .value_kind:     hidden_global_offset_z
      - .offset:         96
        .size:           2
        .value_kind:     hidden_grid_dims
    .group_segment_fixed_size: 0
    .kernarg_segment_align: 8
    .kernarg_segment_size: 288
    .language:       OpenCL C
    .language_version:
      - 2
      - 0
    .max_flat_workgroup_size: 1024
    .name:           _Z11pnpoly_basePiPK15HIP_vector_typeIfLj2EES3_i
    .private_segment_fixed_size: 0
    .sgpr_count:     18
    .sgpr_spill_count: 0
    .symbol:         _Z11pnpoly_basePiPK15HIP_vector_typeIfLj2EES3_i.kd
    .uniform_work_group_size: 1
    .uses_dynamic_stack: false
    .vgpr_count:     12
    .vgpr_spill_count: 0
    .wavefront_size: 32
    .workgroup_processor_mode: 1
  - .args:
      - .actual_access:  write_only
        .address_space:  global
        .offset:         0
        .size:           8
        .value_kind:     global_buffer
      - .actual_access:  read_only
        .address_space:  global
        .offset:         8
        .size:           8
        .value_kind:     global_buffer
      - .actual_access:  read_only
        .address_space:  global
        .offset:         16
        .size:           8
        .value_kind:     global_buffer
      - .offset:         24
        .size:           4
        .value_kind:     by_value
    .group_segment_fixed_size: 0
    .kernarg_segment_align: 8
    .kernarg_segment_size: 28
    .language:       OpenCL C
    .language_version:
      - 2
      - 0
    .max_flat_workgroup_size: 1024
    .name:           _Z10pnpoly_optILi1EEvPiPK15HIP_vector_typeIfLj2EES4_i
    .private_segment_fixed_size: 0
    .sgpr_count:     26
    .sgpr_spill_count: 0
    .symbol:         _Z10pnpoly_optILi1EEvPiPK15HIP_vector_typeIfLj2EES4_i.kd
    .uniform_work_group_size: 1
    .uses_dynamic_stack: false
    .vgpr_count:     45
    .vgpr_spill_count: 0
    .wavefront_size: 32
    .workgroup_processor_mode: 1
  - .args:
      - .actual_access:  write_only
        .address_space:  global
        .offset:         0
        .size:           8
        .value_kind:     global_buffer
      - .actual_access:  read_only
        .address_space:  global
        .offset:         8
        .size:           8
        .value_kind:     global_buffer
      - .actual_access:  read_only
        .address_space:  global
        .offset:         16
        .size:           8
        .value_kind:     global_buffer
      - .offset:         24
        .size:           4
        .value_kind:     by_value
    .group_segment_fixed_size: 0
    .kernarg_segment_align: 8
    .kernarg_segment_size: 28
    .language:       OpenCL C
    .language_version:
      - 2
      - 0
    .max_flat_workgroup_size: 1024
    .name:           _Z10pnpoly_optILi2EEvPiPK15HIP_vector_typeIfLj2EES4_i
    .private_segment_fixed_size: 0
    .sgpr_count:     16
    .sgpr_spill_count: 0
    .symbol:         _Z10pnpoly_optILi2EEvPiPK15HIP_vector_typeIfLj2EES4_i.kd
    .uniform_work_group_size: 1
    .uses_dynamic_stack: false
    .vgpr_count:     15
    .vgpr_spill_count: 0
    .wavefront_size: 32
    .workgroup_processor_mode: 1
  - .args:
      - .actual_access:  write_only
        .address_space:  global
        .offset:         0
        .size:           8
        .value_kind:     global_buffer
      - .actual_access:  read_only
        .address_space:  global
        .offset:         8
        .size:           8
        .value_kind:     global_buffer
      - .actual_access:  read_only
        .address_space:  global
        .offset:         16
        .size:           8
        .value_kind:     global_buffer
      - .offset:         24
        .size:           4
        .value_kind:     by_value
    .group_segment_fixed_size: 0
    .kernarg_segment_align: 8
    .kernarg_segment_size: 28
    .language:       OpenCL C
    .language_version:
      - 2
      - 0
    .max_flat_workgroup_size: 1024
    .name:           _Z10pnpoly_optILi4EEvPiPK15HIP_vector_typeIfLj2EES4_i
    .private_segment_fixed_size: 0
    .sgpr_count:     18
    .sgpr_spill_count: 0
    .symbol:         _Z10pnpoly_optILi4EEvPiPK15HIP_vector_typeIfLj2EES4_i.kd
    .uniform_work_group_size: 1
    .uses_dynamic_stack: false
    .vgpr_count:     21
    .vgpr_spill_count: 0
    .wavefront_size: 32
    .workgroup_processor_mode: 1
  - .args:
      - .actual_access:  write_only
        .address_space:  global
        .offset:         0
        .size:           8
        .value_kind:     global_buffer
      - .actual_access:  read_only
        .address_space:  global
        .offset:         8
        .size:           8
        .value_kind:     global_buffer
      - .actual_access:  read_only
        .address_space:  global
        .offset:         16
        .size:           8
        .value_kind:     global_buffer
      - .offset:         24
        .size:           4
        .value_kind:     by_value
    .group_segment_fixed_size: 0
    .kernarg_segment_align: 8
    .kernarg_segment_size: 28
    .language:       OpenCL C
    .language_version:
      - 2
      - 0
    .max_flat_workgroup_size: 1024
    .name:           _Z10pnpoly_optILi8EEvPiPK15HIP_vector_typeIfLj2EES4_i
    .private_segment_fixed_size: 0
    .sgpr_count:     22
    .sgpr_spill_count: 0
    .symbol:         _Z10pnpoly_optILi8EEvPiPK15HIP_vector_typeIfLj2EES4_i.kd
    .uniform_work_group_size: 1
    .uses_dynamic_stack: false
    .vgpr_count:     35
    .vgpr_spill_count: 0
    .wavefront_size: 32
    .workgroup_processor_mode: 1
  - .args:
      - .actual_access:  write_only
        .address_space:  global
        .offset:         0
        .size:           8
        .value_kind:     global_buffer
      - .actual_access:  read_only
        .address_space:  global
        .offset:         8
        .size:           8
        .value_kind:     global_buffer
      - .actual_access:  read_only
        .address_space:  global
        .offset:         16
        .size:           8
        .value_kind:     global_buffer
      - .offset:         24
        .size:           4
        .value_kind:     by_value
    .group_segment_fixed_size: 0
    .kernarg_segment_align: 8
    .kernarg_segment_size: 28
    .language:       OpenCL C
    .language_version:
      - 2
      - 0
    .max_flat_workgroup_size: 1024
    .name:           _Z10pnpoly_optILi16EEvPiPK15HIP_vector_typeIfLj2EES4_i
    .private_segment_fixed_size: 0
    .sgpr_count:     30
    .sgpr_spill_count: 0
    .symbol:         _Z10pnpoly_optILi16EEvPiPK15HIP_vector_typeIfLj2EES4_i.kd
    .uniform_work_group_size: 1
    .uses_dynamic_stack: false
    .vgpr_count:     63
    .vgpr_spill_count: 0
    .wavefront_size: 32
    .workgroup_processor_mode: 1
  - .args:
      - .actual_access:  write_only
        .address_space:  global
        .offset:         0
        .size:           8
        .value_kind:     global_buffer
      - .actual_access:  read_only
        .address_space:  global
        .offset:         8
        .size:           8
        .value_kind:     global_buffer
      - .actual_access:  read_only
        .address_space:  global
        .offset:         16
        .size:           8
        .value_kind:     global_buffer
      - .offset:         24
        .size:           4
        .value_kind:     by_value
    .group_segment_fixed_size: 0
    .kernarg_segment_align: 8
    .kernarg_segment_size: 28
    .language:       OpenCL C
    .language_version:
      - 2
      - 0
    .max_flat_workgroup_size: 1024
    .name:           _Z10pnpoly_optILi32EEvPiPK15HIP_vector_typeIfLj2EES4_i
    .private_segment_fixed_size: 0
    .sgpr_count:     48
    .sgpr_spill_count: 0
    .symbol:         _Z10pnpoly_optILi32EEvPiPK15HIP_vector_typeIfLj2EES4_i.kd
    .uniform_work_group_size: 1
    .uses_dynamic_stack: false
    .vgpr_count:     119
    .vgpr_spill_count: 0
    .wavefront_size: 32
    .workgroup_processor_mode: 1
  - .args:
      - .actual_access:  write_only
        .address_space:  global
        .offset:         0
        .size:           8
        .value_kind:     global_buffer
      - .actual_access:  read_only
        .address_space:  global
        .offset:         8
        .size:           8
        .value_kind:     global_buffer
      - .actual_access:  read_only
        .address_space:  global
        .offset:         16
        .size:           8
        .value_kind:     global_buffer
      - .offset:         24
        .size:           4
        .value_kind:     by_value
    .group_segment_fixed_size: 0
    .kernarg_segment_align: 8
    .kernarg_segment_size: 28
    .language:       OpenCL C
    .language_version:
      - 2
      - 0
    .max_flat_workgroup_size: 1024
    .name:           _Z10pnpoly_optILi64EEvPiPK15HIP_vector_typeIfLj2EES4_i
    .private_segment_fixed_size: 420
    .sgpr_count:     86
    .sgpr_spill_count: 0
    .symbol:         _Z10pnpoly_optILi64EEvPiPK15HIP_vector_typeIfLj2EES4_i.kd
    .uniform_work_group_size: 1
    .uses_dynamic_stack: false
    .vgpr_count:     128
    .vgpr_spill_count: 174
    .wavefront_size: 32
    .workgroup_processor_mode: 1
amdhsa.target:   amdgcn-amd-amdhsa--gfx1030
amdhsa.version:
  - 1
  - 2
...

	.end_amdgpu_metadata
